;; amdgpu-corpus repo=ROCm/rocFFT kind=compiled arch=gfx950 opt=O3
	.text
	.amdgcn_target "amdgcn-amd-amdhsa--gfx950"
	.amdhsa_code_object_version 6
	.protected	fft_rtc_fwd_len2000_factors_5_5_5_16_wgs_125_tpt_125_halfLds_sp_ip_CI_sbrr_dirReg ; -- Begin function fft_rtc_fwd_len2000_factors_5_5_5_16_wgs_125_tpt_125_halfLds_sp_ip_CI_sbrr_dirReg
	.globl	fft_rtc_fwd_len2000_factors_5_5_5_16_wgs_125_tpt_125_halfLds_sp_ip_CI_sbrr_dirReg
	.p2align	8
	.type	fft_rtc_fwd_len2000_factors_5_5_5_16_wgs_125_tpt_125_halfLds_sp_ip_CI_sbrr_dirReg,@function
fft_rtc_fwd_len2000_factors_5_5_5_16_wgs_125_tpt_125_halfLds_sp_ip_CI_sbrr_dirReg: ; @fft_rtc_fwd_len2000_factors_5_5_5_16_wgs_125_tpt_125_halfLds_sp_ip_CI_sbrr_dirReg
; %bb.0:
	s_load_dwordx2 s[12:13], s[0:1], 0x18
	s_load_dwordx4 s[4:7], s[0:1], 0x0
	s_load_dwordx2 s[10:11], s[0:1], 0x50
	v_mul_u32_u24_e32 v1, 0x20d, v0
	v_add_u32_sdwa v6, s2, v1 dst_sel:DWORD dst_unused:UNUSED_PAD src0_sel:DWORD src1_sel:WORD_1
	s_waitcnt lgkmcnt(0)
	s_load_dwordx2 s[8:9], s[12:13], 0x0
	v_mov_b32_e32 v4, 0
	v_cmp_lt_u64_e64 s[2:3], s[6:7], 2
	v_mov_b32_e32 v7, v4
	s_and_b64 vcc, exec, s[2:3]
	v_mov_b64_e32 v[2:3], 0
	s_cbranch_vccnz .LBB0_8
; %bb.1:
	s_load_dwordx2 s[2:3], s[0:1], 0x10
	s_add_u32 s14, s12, 8
	s_addc_u32 s15, s13, 0
	s_mov_b64 s[16:17], 1
	v_mov_b64_e32 v[2:3], 0
	s_waitcnt lgkmcnt(0)
	s_add_u32 s18, s2, 8
	s_addc_u32 s19, s3, 0
.LBB0_2:                                ; =>This Inner Loop Header: Depth=1
	s_load_dwordx2 s[20:21], s[18:19], 0x0
                                        ; implicit-def: $vgpr8_vgpr9
	s_waitcnt lgkmcnt(0)
	v_or_b32_e32 v5, s21, v7
	v_cmp_ne_u64_e32 vcc, 0, v[4:5]
	s_and_saveexec_b64 s[2:3], vcc
	s_xor_b64 s[22:23], exec, s[2:3]
	s_cbranch_execz .LBB0_4
; %bb.3:                                ;   in Loop: Header=BB0_2 Depth=1
	v_cvt_f32_u32_e32 v1, s20
	v_cvt_f32_u32_e32 v5, s21
	s_sub_u32 s2, 0, s20
	s_subb_u32 s3, 0, s21
	v_fmac_f32_e32 v1, 0x4f800000, v5
	v_rcp_f32_e32 v1, v1
	s_nop 0
	v_mul_f32_e32 v1, 0x5f7ffffc, v1
	v_mul_f32_e32 v5, 0x2f800000, v1
	v_trunc_f32_e32 v5, v5
	v_fmac_f32_e32 v1, 0xcf800000, v5
	v_cvt_u32_f32_e32 v5, v5
	v_cvt_u32_f32_e32 v1, v1
	v_mul_lo_u32 v8, s2, v5
	v_mul_hi_u32 v10, s2, v1
	v_mul_lo_u32 v9, s3, v1
	v_add_u32_e32 v10, v10, v8
	v_mul_lo_u32 v12, s2, v1
	v_add_u32_e32 v13, v10, v9
	v_mul_hi_u32 v8, v1, v12
	v_mul_hi_u32 v11, v1, v13
	v_mul_lo_u32 v10, v1, v13
	v_mov_b32_e32 v9, v4
	v_lshl_add_u64 v[8:9], v[8:9], 0, v[10:11]
	v_mul_hi_u32 v11, v5, v12
	v_mul_lo_u32 v12, v5, v12
	v_add_co_u32_e32 v8, vcc, v8, v12
	v_mul_hi_u32 v10, v5, v13
	s_nop 0
	v_addc_co_u32_e32 v8, vcc, v9, v11, vcc
	v_mov_b32_e32 v9, v4
	s_nop 0
	v_addc_co_u32_e32 v11, vcc, 0, v10, vcc
	v_mul_lo_u32 v10, v5, v13
	v_lshl_add_u64 v[8:9], v[8:9], 0, v[10:11]
	v_add_co_u32_e32 v1, vcc, v1, v8
	v_mul_lo_u32 v10, s2, v1
	s_nop 0
	v_addc_co_u32_e32 v5, vcc, v5, v9, vcc
	v_mul_lo_u32 v8, s2, v5
	v_mul_hi_u32 v9, s2, v1
	v_add_u32_e32 v8, v9, v8
	v_mul_lo_u32 v9, s3, v1
	v_add_u32_e32 v12, v8, v9
	v_mul_hi_u32 v14, v5, v10
	v_mul_lo_u32 v15, v5, v10
	v_mul_hi_u32 v9, v1, v12
	v_mul_lo_u32 v8, v1, v12
	v_mul_hi_u32 v10, v1, v10
	v_mov_b32_e32 v11, v4
	v_lshl_add_u64 v[8:9], v[10:11], 0, v[8:9]
	v_add_co_u32_e32 v8, vcc, v8, v15
	v_mul_hi_u32 v13, v5, v12
	s_nop 0
	v_addc_co_u32_e32 v8, vcc, v9, v14, vcc
	v_mul_lo_u32 v10, v5, v12
	s_nop 0
	v_addc_co_u32_e32 v11, vcc, 0, v13, vcc
	v_mov_b32_e32 v9, v4
	v_lshl_add_u64 v[8:9], v[8:9], 0, v[10:11]
	v_add_co_u32_e32 v1, vcc, v1, v8
	v_mul_hi_u32 v10, v6, v1
	s_nop 0
	v_addc_co_u32_e32 v5, vcc, v5, v9, vcc
	v_mad_u64_u32 v[8:9], s[2:3], v6, v5, 0
	v_mov_b32_e32 v11, v4
	v_lshl_add_u64 v[8:9], v[10:11], 0, v[8:9]
	v_mad_u64_u32 v[12:13], s[2:3], v7, v1, 0
	v_add_co_u32_e32 v1, vcc, v8, v12
	v_mad_u64_u32 v[10:11], s[2:3], v7, v5, 0
	s_nop 0
	v_addc_co_u32_e32 v8, vcc, v9, v13, vcc
	v_mov_b32_e32 v9, v4
	s_nop 0
	v_addc_co_u32_e32 v11, vcc, 0, v11, vcc
	v_lshl_add_u64 v[8:9], v[8:9], 0, v[10:11]
	v_mul_lo_u32 v1, s21, v8
	v_mul_lo_u32 v5, s20, v9
	v_mad_u64_u32 v[10:11], s[2:3], s20, v8, 0
	v_add3_u32 v1, v11, v5, v1
	v_sub_u32_e32 v5, v7, v1
	v_mov_b32_e32 v11, s21
	v_sub_co_u32_e32 v14, vcc, v6, v10
	v_lshl_add_u64 v[12:13], v[8:9], 0, 1
	s_nop 0
	v_subb_co_u32_e64 v5, s[2:3], v5, v11, vcc
	v_subrev_co_u32_e64 v10, s[2:3], s20, v14
	v_subb_co_u32_e32 v1, vcc, v7, v1, vcc
	s_nop 0
	v_subbrev_co_u32_e64 v5, s[2:3], 0, v5, s[2:3]
	v_cmp_le_u32_e64 s[2:3], s21, v5
	v_cmp_le_u32_e32 vcc, s21, v1
	s_nop 0
	v_cndmask_b32_e64 v11, 0, -1, s[2:3]
	v_cmp_le_u32_e64 s[2:3], s20, v10
	s_nop 1
	v_cndmask_b32_e64 v10, 0, -1, s[2:3]
	v_cmp_eq_u32_e64 s[2:3], s21, v5
	s_nop 1
	v_cndmask_b32_e64 v5, v11, v10, s[2:3]
	v_lshl_add_u64 v[10:11], v[8:9], 0, 2
	v_cmp_ne_u32_e64 s[2:3], 0, v5
	s_nop 1
	v_cndmask_b32_e64 v5, v13, v11, s[2:3]
	v_cndmask_b32_e64 v11, 0, -1, vcc
	v_cmp_le_u32_e32 vcc, s20, v14
	s_nop 1
	v_cndmask_b32_e64 v13, 0, -1, vcc
	v_cmp_eq_u32_e32 vcc, s21, v1
	s_nop 1
	v_cndmask_b32_e32 v1, v11, v13, vcc
	v_cmp_ne_u32_e32 vcc, 0, v1
	v_cndmask_b32_e64 v1, v12, v10, s[2:3]
	s_nop 0
	v_cndmask_b32_e32 v9, v9, v5, vcc
	v_cndmask_b32_e32 v8, v8, v1, vcc
.LBB0_4:                                ;   in Loop: Header=BB0_2 Depth=1
	s_andn2_saveexec_b64 s[2:3], s[22:23]
	s_cbranch_execz .LBB0_6
; %bb.5:                                ;   in Loop: Header=BB0_2 Depth=1
	v_cvt_f32_u32_e32 v1, s20
	s_sub_i32 s22, 0, s20
	v_rcp_iflag_f32_e32 v1, v1
	s_nop 0
	v_mul_f32_e32 v1, 0x4f7ffffe, v1
	v_cvt_u32_f32_e32 v1, v1
	v_mul_lo_u32 v5, s22, v1
	v_mul_hi_u32 v5, v1, v5
	v_add_u32_e32 v1, v1, v5
	v_mul_hi_u32 v1, v6, v1
	v_mul_lo_u32 v5, v1, s20
	v_sub_u32_e32 v5, v6, v5
	v_add_u32_e32 v8, 1, v1
	v_subrev_u32_e32 v9, s20, v5
	v_cmp_le_u32_e32 vcc, s20, v5
	s_nop 1
	v_cndmask_b32_e32 v5, v5, v9, vcc
	v_cndmask_b32_e32 v1, v1, v8, vcc
	v_add_u32_e32 v8, 1, v1
	v_cmp_le_u32_e32 vcc, s20, v5
	v_mov_b32_e32 v9, v4
	s_nop 0
	v_cndmask_b32_e32 v8, v1, v8, vcc
.LBB0_6:                                ;   in Loop: Header=BB0_2 Depth=1
	s_or_b64 exec, exec, s[2:3]
	v_mad_u64_u32 v[10:11], s[2:3], v8, s20, 0
	s_load_dwordx2 s[2:3], s[14:15], 0x0
	v_mul_lo_u32 v1, v9, s20
	v_mul_lo_u32 v5, v8, s21
	v_add3_u32 v1, v11, v5, v1
	v_sub_co_u32_e32 v5, vcc, v6, v10
	s_add_u32 s16, s16, 1
	s_nop 0
	v_subb_co_u32_e32 v1, vcc, v7, v1, vcc
	s_addc_u32 s17, s17, 0
	s_waitcnt lgkmcnt(0)
	v_mul_lo_u32 v1, s2, v1
	v_mul_lo_u32 v6, s3, v5
	v_mad_u64_u32 v[2:3], s[2:3], s2, v5, v[2:3]
	s_add_u32 s14, s14, 8
	v_add3_u32 v3, v6, v3, v1
	s_addc_u32 s15, s15, 0
	v_mov_b64_e32 v[6:7], s[6:7]
	s_add_u32 s18, s18, 8
	v_cmp_ge_u64_e32 vcc, s[16:17], v[6:7]
	s_addc_u32 s19, s19, 0
	s_cbranch_vccnz .LBB0_9
; %bb.7:                                ;   in Loop: Header=BB0_2 Depth=1
	v_mov_b64_e32 v[6:7], v[8:9]
	s_branch .LBB0_2
.LBB0_8:
	v_mov_b64_e32 v[8:9], v[6:7]
.LBB0_9:
	s_lshl_b64 s[2:3], s[6:7], 3
	s_add_u32 s2, s12, s2
	s_addc_u32 s3, s13, s3
	s_load_dwordx2 s[6:7], s[2:3], 0x0
	s_load_dwordx2 s[12:13], s[0:1], 0x20
	s_mov_b32 s2, 0x20c49bb
                                        ; implicit-def: $vgpr71
                                        ; implicit-def: $vgpr70
	s_waitcnt lgkmcnt(0)
	v_mul_lo_u32 v1, s6, v9
	v_mul_lo_u32 v4, s7, v8
	v_mad_u64_u32 v[2:3], s[0:1], s6, v8, v[2:3]
	v_add3_u32 v3, v4, v3, v1
	v_mul_hi_u32 v1, v0, s2
	v_mul_u32_u24_e32 v1, 0x7d, v1
	v_cmp_gt_u64_e32 vcc, s[12:13], v[8:9]
	v_cmp_le_u64_e64 s[0:1], s[12:13], v[8:9]
	v_sub_u32_e32 v69, v0, v1
                                        ; implicit-def: $sgpr6
	s_and_saveexec_b64 s[2:3], s[0:1]
	s_xor_b64 s[0:1], exec, s[2:3]
; %bb.10:
	v_add_u32_e32 v71, 0x7d, v69
	v_add_u32_e32 v70, 0xfa, v69
	s_mov_b32 s6, 0
; %bb.11:
	s_or_saveexec_b64 s[2:3], s[0:1]
	v_mov_b32_e32 v68, s6
	v_lshl_add_u64 v[4:5], v[2:3], 3, s[10:11]
                                        ; implicit-def: $vgpr14
                                        ; implicit-def: $vgpr12
                                        ; implicit-def: $vgpr32
                                        ; implicit-def: $vgpr36
                                        ; implicit-def: $vgpr44
                                        ; implicit-def: $vgpr34
                                        ; implicit-def: $vgpr38
                                        ; implicit-def: $vgpr46
                                        ; implicit-def: $vgpr30
                                        ; implicit-def: $vgpr28
                                        ; implicit-def: $vgpr24
                                        ; implicit-def: $vgpr26
                                        ; implicit-def: $vgpr22
                                        ; implicit-def: $vgpr9
                                        ; implicit-def: $vgpr43
                                        ; implicit-def: $vgpr21
                                        ; implicit-def: $vgpr41
                                        ; implicit-def: $vgpr19
                                        ; implicit-def: $vgpr10
                                        ; implicit-def: $vgpr16
	s_xor_b64 exec, exec, s[2:3]
	s_cbranch_execz .LBB0_15
; %bb.12:
	v_mad_u64_u32 v[0:1], s[0:1], s8, v69, 0
	v_mov_b32_e32 v2, v1
	v_mad_u64_u32 v[2:3], s[0:1], s9, v69, v[2:3]
	v_mov_b32_e32 v1, v2
	v_add_u32_e32 v7, 0x190, v69
	v_lshl_add_u64 v[2:3], v[0:1], 3, v[4:5]
	v_mad_u64_u32 v[0:1], s[0:1], s8, v7, 0
	v_mov_b32_e32 v6, v1
	v_mad_u64_u32 v[6:7], s[0:1], s9, v7, v[6:7]
	v_mov_b32_e32 v1, v6
	v_add_u32_e32 v9, 0x320, v69
	v_lshl_add_u64 v[6:7], v[0:1], 3, v[4:5]
	v_mad_u64_u32 v[0:1], s[0:1], s8, v9, 0
	v_mov_b32_e32 v8, v1
	v_mad_u64_u32 v[8:9], s[0:1], s9, v9, v[8:9]
	v_mov_b32_e32 v1, v8
	v_add_u32_e32 v9, 0x4b0, v69
	v_lshl_add_u64 v[10:11], v[0:1], 3, v[4:5]
	v_mad_u64_u32 v[0:1], s[0:1], s8, v9, 0
	v_mov_b32_e32 v8, v1
	v_mad_u64_u32 v[8:9], s[0:1], s9, v9, v[8:9]
	v_mov_b32_e32 v1, v8
	v_lshl_add_u64 v[16:17], v[0:1], 3, v[4:5]
	global_load_dwordx2 v[0:1], v[2:3], off
	global_load_dwordx2 v[14:15], v[6:7], off
	global_load_dwordx2 v[12:13], v[10:11], off
	global_load_dwordx2 v[8:9], v[16:17], off
	v_add_u32_e32 v7, 0x640, v69
	v_mad_u64_u32 v[2:3], s[0:1], s8, v7, 0
	v_mov_b32_e32 v6, v3
	v_mad_u64_u32 v[6:7], s[0:1], s9, v7, v[6:7]
	v_mov_b32_e32 v3, v6
	v_add_u32_e32 v71, 0x7d, v69
	v_lshl_add_u64 v[10:11], v[2:3], 3, v[4:5]
	v_mad_u64_u32 v[2:3], s[0:1], s8, v71, 0
	v_mov_b32_e32 v6, v3
	v_mad_u64_u32 v[6:7], s[0:1], s9, v71, v[6:7]
	v_mov_b32_e32 v3, v6
	v_add_u32_e32 v7, 0x20d, v69
	v_lshl_add_u64 v[18:19], v[2:3], 3, v[4:5]
	v_mad_u64_u32 v[2:3], s[0:1], s8, v7, 0
	v_mov_b32_e32 v6, v3
	v_mad_u64_u32 v[6:7], s[0:1], s9, v7, v[6:7]
	v_mov_b32_e32 v3, v6
	v_add_u32_e32 v7, 0x39d, v69
	v_lshl_add_u64 v[20:21], v[2:3], 3, v[4:5]
	v_mad_u64_u32 v[2:3], s[0:1], s8, v7, 0
	v_mov_b32_e32 v6, v3
	v_mad_u64_u32 v[6:7], s[0:1], s9, v7, v[6:7]
	v_mov_b32_e32 v3, v6
	v_lshl_add_u64 v[22:23], v[2:3], 3, v[4:5]
	global_load_dwordx2 v[6:7], v[10:11], off
	global_load_dwordx2 v[40:41], v[18:19], off
	global_load_dwordx2 v[16:17], v[20:21], off
	global_load_dwordx2 v[2:3], v[22:23], off
	v_add_u32_e32 v19, 0x52d, v69
	;; [unrolled: 28-line block ×3, first 2 shown]
	v_mad_u64_u32 v[18:19], s[0:1], s8, v23, 0
	v_mov_b32_e32 v22, v19
	v_mad_u64_u32 v[22:23], s[0:1], s9, v23, v[22:23]
	v_mov_b32_e32 v19, v22
	v_add_u32_e32 v25, 0x5aa, v69
	v_lshl_add_u64 v[22:23], v[18:19], 3, v[4:5]
	v_mad_u64_u32 v[18:19], s[0:1], s8, v25, 0
	v_mov_b32_e32 v24, v19
	v_mad_u64_u32 v[24:25], s[0:1], s9, v25, v[24:25]
	v_mov_b32_e32 v19, v24
	v_add_u32_e32 v27, 0x73a, v69
	v_lshl_add_u64 v[24:25], v[18:19], 3, v[4:5]
	v_mad_u64_u32 v[18:19], s[0:1], s8, v27, 0
	v_mov_b32_e32 v26, v19
	v_mad_u64_u32 v[26:27], s[0:1], s9, v27, v[26:27]
	v_mov_b32_e32 v19, v26
	v_lshl_add_u64 v[26:27], v[18:19], 3, v[4:5]
	global_load_dwordx2 v[50:51], v[22:23], off
	global_load_dwordx2 v[18:19], v[24:25], off
	;; [unrolled: 1-line block ×3, first 2 shown]
	v_cmp_gt_u32_e64 s[0:1], 25, v69
                                        ; implicit-def: $vgpr23
                                        ; implicit-def: $vgpr27
                                        ; implicit-def: $vgpr25
                                        ; implicit-def: $vgpr29
                                        ; implicit-def: $vgpr31
	s_and_saveexec_b64 s[6:7], s[0:1]
	s_cbranch_execz .LBB0_14
; %bb.13:
	v_add_u32_e32 v25, 0x177, v69
	v_mad_u64_u32 v[22:23], s[0:1], s8, v25, 0
	v_mov_b32_e32 v24, v23
	v_mad_u64_u32 v[24:25], s[0:1], s9, v25, v[24:25]
	v_mov_b32_e32 v23, v24
	v_add_u32_e32 v25, 0x307, v69
	v_lshl_add_u64 v[30:31], v[22:23], 3, v[4:5]
	v_mad_u64_u32 v[22:23], s[0:1], s8, v25, 0
	v_mov_b32_e32 v24, v23
	v_mad_u64_u32 v[24:25], s[0:1], s9, v25, v[24:25]
	v_mov_b32_e32 v23, v24
	v_add_u32_e32 v25, 0x497, v69
	v_lshl_add_u64 v[32:33], v[22:23], 3, v[4:5]
	;; [unrolled: 6-line block ×3, first 2 shown]
	v_mad_u64_u32 v[22:23], s[0:1], s8, v25, 0
	v_mov_b32_e32 v24, v23
	v_mad_u64_u32 v[24:25], s[0:1], s9, v25, v[24:25]
	v_mov_b32_e32 v23, v24
	v_lshl_add_u64 v[36:37], v[22:23], 3, v[4:5]
	global_load_dwordx2 v[22:23], v[30:31], off
	global_load_dwordx2 v[26:27], v[32:33], off
	;; [unrolled: 1-line block ×4, first 2 shown]
	v_add_u32_e32 v33, 0x7b7, v69
	v_mad_u64_u32 v[30:31], s[0:1], s8, v33, 0
	v_mov_b32_e32 v32, v31
	v_mad_u64_u32 v[32:33], s[0:1], s9, v33, v[32:33]
	v_mov_b32_e32 v31, v32
	v_lshl_add_u64 v[30:31], v[30:31], 3, v[4:5]
	global_load_dwordx2 v[30:31], v[30:31], off
.LBB0_14:
	s_or_b64 exec, exec, s[6:7]
	v_mov_b32_e32 v68, v69
	s_waitcnt vmcnt(4)
	v_mov_b32_e32 v32, v39
	s_waitcnt vmcnt(2)
	v_mov_b32_e32 v33, v51
	v_mov_b32_e32 v36, v41
	;; [unrolled: 1-line block ×17, first 2 shown]
	s_waitcnt vmcnt(1)
	v_mov_b32_e32 v41, v18
	s_waitcnt vmcnt(0)
	v_mov_b32_e32 v40, v52
	v_mov_b32_e32 v18, v53
	;; [unrolled: 1-line block ×4, first 2 shown]
.LBB0_15:
	s_or_b64 exec, exec, s[2:3]
	v_mov_b32_e32 v0, v16
	v_mov_b32_e32 v1, v42
	;; [unrolled: 1-line block ×4, first 2 shown]
	v_pk_add_f32 v[48:49], v[0:1], v[2:3] neg_lo:[0,1] neg_hi:[0,1]
	v_pk_add_f32 v[0:1], v[2:3], v[0:1] neg_lo:[0,1] neg_hi:[0,1]
	v_mov_b32_e32 v2, v10
	v_mov_b32_e32 v3, v40
	;; [unrolled: 1-line block ×8, first 2 shown]
	v_pk_add_f32 v[50:51], v[2:3], v[6:7] neg_lo:[0,1] neg_hi:[0,1]
	v_pk_add_f32 v[52:53], v[6:7], v[2:3] neg_lo:[0,1] neg_hi:[0,1]
	v_mov_b32_e32 v58, v27
	v_mov_b32_e32 v59, v25
	;; [unrolled: 1-line block ×4, first 2 shown]
	v_pk_add_f32 v[2:3], v[66:67], v[64:65]
	s_mov_b32 s2, 0x3f737871
	v_pk_fma_f32 v[2:3], -0.5, v[2:3], v[22:23] op_sel_hi:[0,1,0]
	v_pk_add_f32 v[6:7], v[58:59], v[62:63] neg_lo:[0,1] neg_hi:[0,1]
	s_mov_b32 s0, 0x3f167918
	v_pk_fma_f32 v[54:55], v[6:7], s[2:3], v[2:3] op_sel:[0,0,1] op_sel_hi:[1,0,0] neg_lo:[1,0,0] neg_hi:[1,0,0]
	v_pk_fma_f32 v[56:57], v[6:7], s[2:3], v[2:3] op_sel:[0,0,1] op_sel_hi:[1,0,0]
	v_mov_b32_e32 v60, v28
	v_mov_b32_e32 v57, v55
	v_pk_mul_f32 v[54:55], v[6:7], s[0:1] op_sel_hi:[1,0]
	v_mov_b32_e32 v61, v30
	v_pk_add_f32 v[54:55], v[54:55], v[56:57] op_sel:[1,0] op_sel_hi:[0,1]
	v_mov_b32_e32 v56, v24
	v_mov_b32_e32 v57, v26
	v_pk_add_f32 v[56:57], v[64:65], v[56:57] neg_lo:[0,1] neg_hi:[0,1]
	v_pk_add_f32 v[60:61], v[66:67], v[60:61] neg_lo:[0,1] neg_hi:[0,1]
	v_sub_f32_e32 v78, v45, v9
	v_pk_add_f32 v[56:57], v[60:61], v[56:57]
	v_pk_mul_f32 v[60:61], v[6:7], s[2:3] op_sel_hi:[1,0]
	s_mov_b32 s2, 0x3e9e377a
	v_pk_add_f32 v[72:73], v[2:3], v[60:61] op_sel:[0,1] op_sel_hi:[1,0] neg_lo:[0,1] neg_hi:[0,1]
	v_pk_add_f32 v[2:3], v[2:3], v[60:61] op_sel:[0,1] op_sel_hi:[1,0]
	v_mul_f32_e32 v61, 0x3f737871, v78
	v_mov_b32_e32 v3, v73
	v_pk_fma_f32 v[2:3], v[6:7], s[0:1], v[2:3] op_sel_hi:[1,0,1] neg_lo:[1,0,0] neg_hi:[1,0,0]
	v_pk_fma_f32 v[6:7], v[56:57], s[2:3], v[54:55] op_sel_hi:[1,0,1]
	v_pk_mul_f32 v[54:55], v[56:57], s[2:3] op_sel_hi:[1,0]
	v_mov_b32_e32 v60, 0x3f167918
	v_pk_add_f32 v[2:3], v[54:55], v[2:3] op_sel:[1,0] op_sel_hi:[0,1]
	v_add_f32_e32 v54, v15, v14
	v_mul_f32_e32 v55, 0.5, v54
	v_mov_b32_e32 v54, v8
	v_pk_add_f32 v[54:55], v[46:47], v[54:55] neg_lo:[0,1] neg_hi:[0,1]
	v_mov_b32_e32 v74, v47
	v_pk_mul_f32 v[56:57], v[54:55], s[0:1]
	v_pk_add_f32 v[72:73], v[54:55], v[60:61]
	v_mov_b32_e32 v57, v56
	v_fmamk_f32 v56, v78, 0xbf737871, v55
	v_pk_add_f32 v[72:73], v[72:73], v[56:57] neg_lo:[0,1] neg_hi:[0,1]
	v_pk_fma_f32 v[56:57], v[54:55], v[60:61], v[56:57]
	v_mul_f32_e32 v77, 0x3f737871, v54
	v_mov_b32_e32 v57, v73
	v_pk_add_f32 v[72:73], v[12:13], v[14:15] neg_lo:[0,1] neg_hi:[0,1]
	v_mov_b32_e32 v76, v12
	v_add_f32_e32 v55, v72, v73
	v_mul_f32_e32 v72, 0x3e9e377a, v55
	v_add_f32_e32 v55, v13, v12
	v_pk_add_f32 v[56:57], v[72:73], v[56:57] op_sel_hi:[0,1]
	v_mul_f32_e32 v73, 0.5, v55
	v_mov_b32_e32 v72, v14
	v_pk_add_f32 v[72:73], v[74:75], v[72:73] op_sel_hi:[0,1] neg_lo:[0,1] neg_hi:[0,1]
	v_pk_add_f32 v[74:75], v[74:75], v[14:15] op_sel_hi:[0,1]
	v_mov_b32_e32 v75, v73
	v_pk_add_f32 v[74:75], v[74:75], v[76:77]
	v_mul_f32_e32 v77, 0x3f167918, v78
	v_mov_b32_e32 v76, v13
	v_pk_add_f32 v[74:75], v[74:75], v[76:77]
	v_pk_add_f32 v[76:77], v[14:15], v[12:13] neg_lo:[0,1] neg_hi:[0,1]
	v_fmac_f32_e32 v73, 0xbf737871, v54
	v_add_f32_e32 v55, v76, v77
	v_mul_f32_e32 v77, 0x3e9e377a, v55
	v_mov_b32_e32 v76, v15
	v_fmac_f32_e32 v73, 0xbf167918, v78
	v_pk_add_f32 v[76:77], v[74:75], v[76:77]
	v_mad_u32_u24 v75, v69, 20, 0
	v_fmac_f32_e32 v73, 0x3e9e377a, v55
	v_pk_add_f32 v[54:55], v[16:17], v[42:43]
	ds_write2_b32 v75, v76, v77 offset1:1
	ds_write2_b32 v75, v56, v57 offset0:2 offset1:3
	v_mul_f32_e32 v57, 0.5, v54
	v_mov_b32_e32 v56, v20
	v_sub_f32_e32 v74, v37, v21
	v_pk_add_f32 v[56:57], v[38:39], v[56:57] neg_lo:[0,1] neg_hi:[0,1]
	ds_write_b32 v75, v73 offset:16
	v_mul_f32_e32 v61, 0x3f737871, v74
	v_pk_mul_f32 v[72:73], v[56:57], s[0:1]
	v_pk_add_f32 v[76:77], v[56:57], v[60:61]
	v_mov_b32_e32 v73, v72
	v_fmamk_f32 v72, v74, 0xbf737871, v57
	v_pk_add_f32 v[76:77], v[76:77], v[72:73] neg_lo:[0,1] neg_hi:[0,1]
	v_pk_fma_f32 v[72:73], v[56:57], v[60:61], v[72:73]
	v_add_f32_e32 v0, v0, v1
	v_mov_b32_e32 v73, v77
	v_mul_f32_e32 v0, 0x3e9e377a, v0
	v_pk_add_f32 v[0:1], v[0:1], v[72:73] op_sel_hi:[0,1]
	v_mul_f32_e32 v55, 0.5, v55
	v_mov_b32_e32 v54, v16
	v_mov_b32_e32 v72, v39
	v_pk_add_f32 v[54:55], v[72:73], v[54:55] op_sel_hi:[0,1] neg_lo:[0,1] neg_hi:[0,1]
	v_pk_add_f32 v[72:73], v[72:73], v[16:17] op_sel_hi:[0,1]
	v_mov_b32_e32 v73, v55
	v_mul_f32_e32 v77, 0x3f737871, v56
	v_mov_b32_e32 v76, v17
	v_pk_add_f32 v[72:73], v[72:73], v[76:77]
	v_mul_f32_e32 v77, 0x3f167918, v74
	v_mov_b32_e32 v76, v43
	v_add_f32_e32 v54, v48, v49
	v_pk_add_f32 v[72:73], v[72:73], v[76:77]
	v_mul_f32_e32 v49, 0x3e9e377a, v54
	v_mov_b32_e32 v48, v42
	v_pk_add_f32 v[48:49], v[72:73], v[48:49]
	v_mad_i32_i24 v76, v71, 20, 0
	v_fmac_f32_e32 v55, 0xbf737871, v56
	ds_write2_b32 v76, v48, v49 offset1:1
	ds_write2_b32 v76, v0, v1 offset0:2 offset1:3
	v_pk_add_f32 v[0:1], v[10:11], v[40:41]
	v_fmac_f32_e32 v55, 0xbf167918, v74
	v_mul_f32_e32 v49, 0.5, v0
	v_mov_b32_e32 v48, v18
	v_fmac_f32_e32 v55, 0x3e9e377a, v54
	v_sub_f32_e32 v72, v33, v19
	v_pk_add_f32 v[48:49], v[34:35], v[48:49] neg_lo:[0,1] neg_hi:[0,1]
	ds_write_b32 v76, v55 offset:16
	v_mul_f32_e32 v61, 0x3f737871, v72
	v_pk_mul_f32 v[54:55], v[48:49], s[0:1]
	v_pk_add_f32 v[56:57], v[48:49], v[60:61]
	v_mov_b32_e32 v55, v54
	v_fmamk_f32 v54, v72, 0xbf737871, v49
	v_pk_fma_f32 v[60:61], v[48:49], v[60:61], v[54:55]
	v_pk_add_f32 v[54:55], v[56:57], v[54:55] neg_lo:[0,1] neg_hi:[0,1]
	v_add_f32_e32 v0, v52, v53
	v_mov_b32_e32 v61, v55
	v_mul_f32_e32 v0, 0x3e9e377a, v0
	v_pk_add_f32 v[52:53], v[0:1], v[60:61] op_sel_hi:[0,1]
	v_mul_f32_e32 v1, 0.5, v1
	v_mov_b32_e32 v0, v10
	v_mov_b32_e32 v54, v35
	v_pk_add_f32 v[0:1], v[54:55], v[0:1] op_sel_hi:[0,1] neg_lo:[0,1] neg_hi:[0,1]
	v_pk_add_f32 v[54:55], v[54:55], v[10:11] op_sel_hi:[0,1]
	v_mov_b32_e32 v55, v1
	v_mul_f32_e32 v57, 0x3f737871, v48
	v_mov_b32_e32 v56, v11
	v_pk_add_f32 v[54:55], v[54:55], v[56:57]
	v_mul_f32_e32 v57, 0x3f167918, v72
	v_mov_b32_e32 v56, v41
	v_add_f32_e32 v0, v50, v51
	v_fmac_f32_e32 v1, 0xbf737871, v48
	v_pk_add_f32 v[54:55], v[54:55], v[56:57]
	v_mul_f32_e32 v51, 0x3e9e377a, v0
	v_mov_b32_e32 v50, v40
	v_fmac_f32_e32 v1, 0xbf167918, v72
	v_pk_add_f32 v[50:51], v[54:55], v[50:51]
	v_mad_i32_i24 v77, v70, 20, 0
	v_fmac_f32_e32 v1, 0x3e9e377a, v0
	ds_write2_b32 v77, v50, v51 offset1:1
	ds_write2_b32 v77, v52, v53 offset0:2 offset1:3
	ds_write_b32 v77, v1 offset:16
	v_pk_add_f32 v[0:1], v[26:27], v[22:23]
	v_cmp_lt_u32_e64 s[2:3], 24, v69
	v_pk_add_f32 v[0:1], v[24:25], v[0:1]
	v_cmp_gt_u32_e64 s[0:1], 25, v69
	v_pk_add_f32 v[0:1], v[28:29], v[0:1]
	s_nop 0
	v_pk_add_f32 v[0:1], v[30:31], v[0:1]
	s_and_saveexec_b64 s[6:7], s[0:1]
	s_cbranch_execz .LBB0_17
; %bb.16:
	v_add_u32_e32 v24, 0x1d50, v75
	ds_write2_b32 v24, v6, v7 offset1:1
	v_add_u32_e32 v24, 0x1d58, v75
	ds_write_b32 v75, v0 offset:7500
	ds_write2_b32 v24, v2, v3 offset1:1
.LBB0_17:
	s_or_b64 exec, exec, s[6:7]
	v_lshlrev_b32_e32 v24, 4, v69
	v_sub_u32_e32 v72, v75, v24
	v_add_u32_e32 v24, 0x600, v72
	s_waitcnt lgkmcnt(0)
	s_barrier
	ds_read2_b32 v[60:61], v24 offset0:16 offset1:141
	v_add_u32_e32 v24, 0xa00, v72
	ds_read2_b32 v[48:49], v24 offset0:10 offset1:160
	v_add_u32_e32 v24, 0x1200, v72
	;; [unrolled: 2-line block ×3, first 2 shown]
	v_add_u32_e32 v28, 0xe00, v72
	ds_read2_b32 v[50:51], v24 offset0:42 offset1:192
	v_lshlrev_b32_e32 v24, 4, v71
	ds_read2_b32 v[56:57], v28 offset0:29 offset1:154
	v_add_u32_e32 v28, 0x1a00, v72
	v_sub_u32_e32 v26, v76, v24
	ds_read2_b32 v[52:53], v28 offset0:61 offset1:186
	v_lshlrev_b32_e32 v28, 4, v70
	v_sub_u32_e32 v30, v77, v28
	ds_read_b32 v74, v72
	ds_read_b32 v73, v26
	;; [unrolled: 1-line block ×3, first 2 shown]
	s_and_saveexec_b64 s[6:7], s[2:3]
	s_xor_b64 s[6:7], exec, s[6:7]
	s_andn2_saveexec_b64 s[6:7], s[6:7]
	s_cbranch_execz .LBB0_19
; %bb.18:
	ds_read_b32 v0, v72 offset:1500
	ds_read_b32 v6, v72 offset:3100
	;; [unrolled: 1-line block ×5, first 2 shown]
.LBB0_19:
	s_or_b64 exec, exec, s[6:7]
	v_mov_b32_e32 v86, v14
	v_mov_b32_e32 v87, v12
	;; [unrolled: 1-line block ×3, first 2 shown]
	s_mov_b32 s10, 0x3f737871
	v_sub_u32_e32 v78, 0, v24
	v_add_f32_e32 v24, v45, v9
	v_mov_b32_e32 v79, v8
	v_pk_add_f32 v[12:13], v[86:87], v[12:13] neg_lo:[0,1] neg_hi:[0,1]
	s_mov_b32 s11, 0x3f167918
	v_sub_u32_e32 v30, 0, v28
	v_fma_f32 v24, -0.5, v24, v44
	v_pk_add_f32 v[80:81], v[78:79], v[8:9] neg_lo:[0,1] neg_hi:[0,1]
	v_pk_add_f32 v[82:83], v[46:47], v[44:45]
	v_pk_add_f32 v[84:85], v[46:47], v[44:45] op_sel_hi:[0,1] neg_lo:[0,1] neg_hi:[0,1]
	v_add_f32_e32 v28, v46, v8
	v_pk_mul_f32 v[14:15], v[12:13], s[10:11]
	v_mov_b32_e32 v83, v85
	v_mov_b32_e32 v80, v45
	v_fma_f32 v28, -0.5, v28, v44
	v_sub_f32_e32 v44, v24, v14
	v_pk_add_f32 v[80:81], v[82:83], v[80:81]
	v_mov_b32_e32 v83, 0x3e9e377a
	v_mov_b32_e32 v82, v9
	v_sub_f32_e32 v87, v44, v15
	v_add_f32_e32 v14, v24, v14
	s_mov_b32 s12, s11
	s_mov_b32 s13, s10
	v_mov_b32_e32 v44, v45
	v_mov_b32_e32 v45, v9
	;; [unrolled: 1-line block ×3, first 2 shown]
	v_pk_add_f32 v[84:85], v[80:81], v[82:83]
	v_pk_mul_f32 v[80:81], v[80:81], v[82:83]
	v_mov_b32_e32 v86, v8
	v_add_f32_e32 v14, v15, v14
	v_pk_mul_f32 v[12:13], v[12:13], s[12:13]
	v_pk_add_f32 v[8:9], v[44:45], v[46:47] neg_lo:[0,1] neg_hi:[0,1]
	v_add_f32_e32 v79, v81, v14
	v_add_f32_e32 v14, v13, v28
	;; [unrolled: 1-line block ×3, first 2 shown]
	v_sub_f32_e32 v9, v28, v13
	v_sub_f32_e32 v14, v14, v12
	v_mul_f32_e32 v8, 0x3e9e377a, v8
	v_add_f32_e32 v15, v12, v9
	v_pk_add_f32 v[12:13], v[8:9], v[14:15] op_sel_hi:[0,1]
	v_add_f32_e32 v8, v37, v21
	v_mov_b32_e32 v9, v20
	v_fma_f32 v24, -0.5, v8, v36
	v_pk_add_f32 v[8:9], v[8:9], v[20:21] neg_lo:[0,1] neg_hi:[0,1]
	v_pk_add_f32 v[14:15], v[38:39], v[36:37]
	v_pk_add_f32 v[44:45], v[38:39], v[36:37] op_sel_hi:[0,1] neg_lo:[0,1] neg_hi:[0,1]
	v_mov_b32_e32 v15, v45
	v_mov_b32_e32 v8, v37
	v_pk_add_f32 v[8:9], v[14:15], v[8:9]
	v_mov_b32_e32 v82, v21
	v_pk_add_f32 v[14:15], v[8:9], v[82:83]
	v_pk_mul_f32 v[8:9], v[8:9], v[82:83]
	v_pk_add_f32 v[16:17], v[16:17], v[42:43] neg_lo:[0,1] neg_hi:[0,1]
	v_add_f32_e32 v8, v38, v20
	v_pk_mul_f32 v[42:43], v[16:17], s[10:11]
	v_fma_f32 v28, -0.5, v8, v36
	v_sub_f32_e32 v8, v24, v42
	v_sub_f32_e32 v45, v8, v43
	v_add_f32_e32 v8, v24, v42
	v_add_f32_e32 v8, v43, v8
	v_mov_b32_e32 v36, v37
	v_mov_b32_e32 v37, v21
	;; [unrolled: 1-line block ×5, first 2 shown]
	v_add_f32_e32 v42, v9, v8
	v_pk_mul_f32 v[8:9], v[16:17], s[12:13]
	v_pk_add_f32 v[20:21], v[36:37], v[38:39] neg_lo:[0,1] neg_hi:[0,1]
	v_add_f32_e32 v16, v9, v28
	v_add_f32_e32 v17, v20, v21
	v_sub_f32_e32 v9, v28, v9
	v_sub_f32_e32 v16, v16, v8
	v_mul_f32_e32 v20, 0x3e9e377a, v17
	v_add_f32_e32 v17, v8, v9
	v_add_f32_e32 v8, v33, v19
	v_mov_b32_e32 v9, v18
	v_pk_add_f32 v[16:17], v[20:21], v[16:17] op_sel_hi:[0,1]
	v_fma_f32 v24, -0.5, v8, v32
	v_pk_add_f32 v[8:9], v[8:9], v[18:19] neg_lo:[0,1] neg_hi:[0,1]
	v_pk_add_f32 v[20:21], v[34:35], v[32:33]
	v_pk_add_f32 v[36:37], v[34:35], v[32:33] op_sel_hi:[0,1] neg_lo:[0,1] neg_hi:[0,1]
	v_mov_b32_e32 v21, v37
	v_mov_b32_e32 v8, v33
	v_pk_add_f32 v[8:9], v[20:21], v[8:9]
	v_mov_b32_e32 v82, v19
	v_pk_add_f32 v[20:21], v[8:9], v[82:83]
	v_pk_mul_f32 v[8:9], v[8:9], v[82:83]
	v_pk_add_f32 v[10:11], v[10:11], v[40:41] neg_lo:[0,1] neg_hi:[0,1]
	v_add_f32_e32 v8, v34, v18
	v_pk_mul_f32 v[36:37], v[10:11], s[10:11]
	v_fma_f32 v28, -0.5, v8, v32
	v_sub_f32_e32 v8, v24, v36
	v_sub_f32_e32 v39, v8, v37
	v_add_f32_e32 v8, v24, v36
	v_add_f32_e32 v8, v37, v8
	v_mov_b32_e32 v21, v9
	v_add_f32_e32 v36, v9, v8
	v_pk_mul_f32 v[8:9], v[10:11], s[12:13]
	v_mov_b32_e32 v32, v33
	v_mov_b32_e32 v33, v19
	;; [unrolled: 1-line block ×4, first 2 shown]
	v_add_f32_e32 v10, v9, v28
	v_pk_add_f32 v[18:19], v[32:33], v[34:35] neg_lo:[0,1] neg_hi:[0,1]
	v_sub_f32_e32 v9, v28, v9
	v_mov_b32_e32 v28, v31
	v_mov_b32_e32 v24, v27
	v_add_f32_e32 v11, v18, v19
	v_pk_add_f32 v[24:25], v[28:29], v[24:25]
	v_sub_f32_e32 v10, v10, v8
	v_mul_f32_e32 v18, 0x3e9e377a, v11
	v_add_f32_e32 v11, v8, v9
	v_pk_add_f32 v[8:9], v[64:65], v[66:67] neg_lo:[0,1] neg_hi:[0,1]
	v_pk_fma_f32 v[22:23], -0.5, v[24:25], v[22:23] op_sel:[0,0,1] op_sel_hi:[0,1,1]
	v_pk_mul_f32 v[24:25], v[8:9], s[10:11] op_sel_hi:[1,0]
	v_pk_fma_f32 v[28:29], v[8:9], s[10:11], v[22:23] op_sel:[0,0,1] op_sel_hi:[1,0,0]
	v_pk_fma_f32 v[34:35], v[8:9], s[10:11], v[22:23] op_sel:[0,0,1] op_sel_hi:[1,0,0] neg_lo:[1,0,0] neg_hi:[1,0,0]
	s_mov_b32 s10, s11
	v_mov_b32_e32 v35, v29
	v_pk_mul_f32 v[28:29], v[8:9], s[10:11] op_sel_hi:[1,0]
	v_pk_add_f32 v[18:19], v[18:19], v[10:11] op_sel_hi:[0,1]
	v_pk_add_f32 v[10:11], v[58:59], v[58:59] op_sel:[1,0] op_sel_hi:[0,1] neg_lo:[0,1] neg_hi:[0,1]
	v_pk_add_f32 v[32:33], v[62:63], v[62:63] op_sel:[1,0] op_sel_hi:[0,1] neg_lo:[0,1] neg_hi:[0,1]
	;; [unrolled: 1-line block ×3, first 2 shown]
	v_pk_add_f32 v[34:35], v[22:23], v[24:25] op_sel:[0,1] op_sel_hi:[1,0]
	v_pk_add_f32 v[22:23], v[22:23], v[24:25] op_sel:[0,1] op_sel_hi:[1,0] neg_lo:[0,1] neg_hi:[0,1]
	s_mov_b32 s6, 0x3e9e377a
	v_pk_add_f32 v[32:33], v[32:33], v[10:11]
	v_mov_b32_e32 v23, v35
	v_mov_b32_e32 v85, v81
	v_pk_mul_f32 v[10:11], v[32:33], s[6:7] op_sel_hi:[1,0]
	v_pk_fma_f32 v[8:9], v[8:9], s[10:11], v[22:23] op_sel_hi:[1,0,1]
	v_pk_add_f32 v[84:85], v[84:85], v[86:87]
	v_pk_add_f32 v[10:11], v[10:11], v[28:29] op_sel:[1,0] op_sel_hi:[0,1]
	v_pk_fma_f32 v[8:9], v[32:33], s[6:7], v[8:9] op_sel_hi:[1,0,1]
	v_pk_add_f32 v[14:15], v[14:15], v[44:45]
	v_pk_add_f32 v[20:21], v[20:21], v[38:39]
	s_waitcnt lgkmcnt(0)
	s_barrier
	ds_write2_b32 v75, v84, v85 offset1:1
	ds_write2_b32 v75, v12, v13 offset0:2 offset1:3
	ds_write_b32 v75, v79 offset:16
	ds_write2_b32 v76, v14, v15 offset1:1
	ds_write2_b32 v76, v16, v17 offset0:2 offset1:3
	ds_write_b32 v76, v42 offset:16
	;; [unrolled: 3-line block ×3, first 2 shown]
	s_and_saveexec_b64 s[6:7], s[0:1]
	s_cbranch_execz .LBB0_21
; %bb.20:
	v_add_u32_e32 v12, 0x1d50, v75
	ds_write2_b32 v12, v10, v11 offset1:1
	v_add_u32_e32 v12, 0x1d58, v75
	ds_write_b32 v75, v1 offset:7500
	ds_write2_b32 v12, v8, v9 offset1:1
.LBB0_21:
	s_or_b64 exec, exec, s[6:7]
	v_add_u32_e32 v12, 0x600, v72
	v_add_u32_e32 v14, 0x1200, v72
	;; [unrolled: 1-line block ×3, first 2 shown]
	s_waitcnt lgkmcnt(0)
	s_barrier
	ds_read2_b32 v[22:23], v12 offset0:16 offset1:141
	v_add_u32_e32 v12, 0xa00, v72
	ds_read2_b32 v[20:21], v14 offset0:48 offset1:173
	v_add_u32_e32 v14, 0x1600, v72
	;; [unrolled: 2-line block ×3, first 2 shown]
	ds_read2_b32 v[12:13], v12 offset0:10 offset1:160
	ds_read2_b32 v[14:15], v14 offset0:42 offset1:192
	v_add_u32_e32 v34, v76, v78
	ds_read2_b32 v[16:17], v16 offset0:61 offset1:186
	v_add_u32_e32 v35, v77, v30
	ds_read_b32 v32, v72
	ds_read_b32 v31, v34
	;; [unrolled: 1-line block ×3, first 2 shown]
	s_and_saveexec_b64 s[6:7], s[2:3]
	s_xor_b64 s[6:7], exec, s[6:7]
	s_andn2_saveexec_b64 s[6:7], s[6:7]
	s_cbranch_execz .LBB0_23
; %bb.22:
	ds_read_b32 v1, v72 offset:1500
	ds_read_b32 v10, v72 offset:3100
	;; [unrolled: 1-line block ×5, first 2 shown]
.LBB0_23:
	s_or_b64 exec, exec, s[6:7]
	s_movk_i32 s6, 0xcd
	v_mul_lo_u16_sdwa v24, v69, s6 dst_sel:DWORD dst_unused:UNUSED_PAD src0_sel:BYTE_0 src1_sel:DWORD
	v_lshrrev_b16_e32 v66, 10, v24
	v_mul_lo_u16_e32 v24, 5, v66
	v_sub_u16_e32 v24, v69, v24
	v_mov_b32_e32 v25, 5
	v_mul_lo_u16_sdwa v28, v71, s6 dst_sel:DWORD dst_unused:UNUSED_PAD src0_sel:BYTE_0 src1_sel:DWORD
	v_lshlrev_b32_sdwa v27, v25, v24 dst_sel:DWORD dst_unused:UNUSED_PAD src0_sel:DWORD src1_sel:BYTE_0
	v_lshrrev_b16_e32 v67, 10, v28
	global_load_dwordx4 v[38:41], v27, s[4:5]
	global_load_dwordx4 v[42:45], v27, s[4:5] offset:16
	v_mul_lo_u16_e32 v27, 5, v67
	v_sub_u16_e32 v28, v71, v27
	v_lshlrev_b32_sdwa v25, v25, v28 dst_sel:DWORD dst_unused:UNUSED_PAD src0_sel:DWORD src1_sel:BYTE_0
	s_mov_b32 s6, 0xcccd
	global_load_dwordx4 v[76:79], v25, s[4:5]
	global_load_dwordx4 v[80:83], v25, s[4:5] offset:16
	v_mul_u32_u24_sdwa v25, v70, s6 dst_sel:DWORD dst_unused:UNUSED_PAD src0_sel:WORD_0 src1_sel:DWORD
	v_lshrrev_b32_e32 v75, 18, v25
	v_mul_lo_u16_e32 v25, 5, v75
	v_sub_u16_e32 v25, v70, v25
	v_lshlrev_b32_e32 v27, 5, v25
	global_load_dwordx4 v[84:87], v27, s[4:5]
	global_load_dwordx4 v[88:91], v27, s[4:5] offset:16
	v_add_u32_e32 v37, 0x177, v69
	v_mul_u32_u24_sdwa v27, v37, s6 dst_sel:DWORD dst_unused:UNUSED_PAD src0_sel:WORD_0 src1_sel:DWORD
	v_lshrrev_b32_e32 v36, 18, v27
	v_mul_lo_u16_e32 v27, 5, v36
	v_sub_u16_e32 v27, v37, v27
	v_lshlrev_b32_e32 v29, 5, v27
	global_load_dwordx4 v[92:95], v29, s[4:5]
	global_load_dwordx4 v[96:99], v29, s[4:5] offset:16
	v_mov_b32_e32 v33, 2
	v_lshlrev_b32_sdwa v100, v33, v24 dst_sel:DWORD dst_unused:UNUSED_PAD src0_sel:DWORD src1_sel:BYTE_0
	v_lshlrev_b32_sdwa v101, v33, v28 dst_sel:DWORD dst_unused:UNUSED_PAD src0_sel:DWORD src1_sel:BYTE_0
	v_lshlrev_b32_e32 v102, 2, v25
	s_mov_b32 s6, 0x3f737871
	s_mov_b32 s12, 0x3f167918
	;; [unrolled: 1-line block ×3, first 2 shown]
	s_waitcnt lgkmcnt(0)
	s_barrier
	s_waitcnt vmcnt(7)
	v_mul_f32_e32 v24, v22, v39
	v_mul_f32_e32 v47, v60, v39
	;; [unrolled: 1-line block ×3, first 2 shown]
	s_waitcnt vmcnt(6)
	v_mul_f32_e32 v62, v51, v45
	v_fma_f32 v60, v60, v38, -v24
	v_mul_f32_e32 v58, v49, v41
	v_mul_f32_e32 v28, v20, v43
	;; [unrolled: 1-line block ×3, first 2 shown]
	v_fma_f32 v63, v49, v40, -v25
	v_fmac_f32_e32 v62, v15, v44
	s_waitcnt vmcnt(5)
	v_mul_f32_e32 v39, v23, v77
	s_waitcnt vmcnt(3)
	v_mul_f32_e32 v33, v48, v85
	v_mul_f32_e32 v15, v12, v85
	v_fmac_f32_e32 v33, v12, v84
	v_add_f32_e32 v12, v74, v60
	v_fmac_f32_e32 v58, v13, v40
	v_mul_f32_e32 v13, v21, v81
	v_fma_f32 v64, v54, v42, -v28
	v_add_f32_e32 v12, v12, v63
	v_mul_f32_e32 v59, v54, v43
	v_fmac_f32_e32 v47, v22, v38
	v_mul_f32_e32 v45, v56, v79
	v_mul_f32_e32 v49, v55, v81
	v_fma_f32 v65, v51, v44, -v29
	v_fma_f32 v54, v61, v76, -v39
	v_mul_f32_e32 v39, v57, v87
	v_fma_f32 v55, v55, v80, -v13
	v_add_f32_e32 v13, v63, v64
	v_add_f32_e32 v12, v12, v64
	v_mul_f32_e32 v41, v18, v79
	v_fmac_f32_e32 v59, v20, v42
	v_mul_f32_e32 v20, v19, v87
	s_waitcnt vmcnt(2)
	v_mul_f32_e32 v44, v50, v89
	v_fmac_f32_e32 v45, v18, v78
	v_fmac_f32_e32 v39, v19, v86
	v_fma_f32 v18, -0.5, v13, v74
	v_add_f32_e32 v19, v12, v65
	v_sub_f32_e32 v12, v47, v62
	v_mul_f32_e32 v28, v14, v89
	v_fma_f32 v48, v48, v84, -v15
	v_fmac_f32_e32 v44, v14, v88
	v_fmamk_f32 v38, v12, 0x3f737871, v18
	v_sub_f32_e32 v13, v58, v59
	v_sub_f32_e32 v14, v60, v63
	;; [unrolled: 1-line block ×3, first 2 shown]
	v_fmac_f32_e32 v18, 0xbf737871, v12
	v_fmac_f32_e32 v38, 0x3f167918, v13
	v_add_f32_e32 v14, v14, v15
	v_fmac_f32_e32 v18, 0xbf167918, v13
	v_fmac_f32_e32 v38, 0x3e9e377a, v14
	;; [unrolled: 1-line block ×3, first 2 shown]
	v_add_f32_e32 v14, v60, v65
	v_fmac_f32_e32 v74, -0.5, v14
	v_fmamk_f32 v40, v13, 0xbf737871, v74
	v_fmac_f32_e32 v74, 0x3f737871, v13
	v_fma_f32 v56, v56, v78, -v41
	v_fmac_f32_e32 v40, 0x3f167918, v12
	v_fmac_f32_e32 v74, 0xbf167918, v12
	v_add_f32_e32 v12, v73, v54
	v_mul_f32_e32 v22, v16, v83
	v_add_f32_e32 v12, v12, v56
	v_mul_f32_e32 v43, v61, v77
	v_mul_f32_e32 v51, v52, v83
	v_fma_f32 v61, v52, v82, -v22
	v_add_f32_e32 v12, v12, v55
	v_fmac_f32_e32 v43, v23, v76
	v_fmac_f32_e32 v51, v16, v82
	v_sub_f32_e32 v14, v63, v60
	v_sub_f32_e32 v15, v64, v65
	v_add_f32_e32 v41, v12, v61
	v_add_f32_e32 v12, v56, v55
	v_fmac_f32_e32 v49, v21, v80
	v_add_f32_e32 v14, v14, v15
	v_fma_f32 v42, -0.5, v12, v73
	v_sub_f32_e32 v12, v43, v51
	v_fmac_f32_e32 v40, 0x3e9e377a, v14
	v_fmac_f32_e32 v74, 0x3e9e377a, v14
	v_fmamk_f32 v76, v12, 0x3f737871, v42
	v_sub_f32_e32 v13, v45, v49
	v_sub_f32_e32 v14, v54, v56
	;; [unrolled: 1-line block ×3, first 2 shown]
	v_fmac_f32_e32 v42, 0xbf737871, v12
	v_fmac_f32_e32 v76, 0x3f167918, v13
	v_add_f32_e32 v14, v14, v15
	v_fmac_f32_e32 v42, 0xbf167918, v13
	v_fmac_f32_e32 v76, 0x3e9e377a, v14
	;; [unrolled: 1-line block ×3, first 2 shown]
	v_add_f32_e32 v14, v54, v61
	v_fmac_f32_e32 v73, -0.5, v14
	v_fmamk_f32 v77, v13, 0xbf737871, v73
	v_fmac_f32_e32 v73, 0x3f737871, v13
	v_fma_f32 v52, v57, v86, -v20
	v_fmac_f32_e32 v77, 0x3f167918, v12
	v_fmac_f32_e32 v73, 0xbf167918, v12
	v_add_f32_e32 v12, v26, v48
	v_mul_f32_e32 v23, v17, v91
	v_fma_f32 v50, v50, v88, -v28
	v_add_f32_e32 v12, v12, v52
	v_mul_f32_e32 v46, v53, v91
	v_fma_f32 v53, v53, v90, -v23
	v_add_f32_e32 v12, v12, v50
	v_fmac_f32_e32 v46, v17, v90
	v_sub_f32_e32 v14, v56, v54
	v_sub_f32_e32 v15, v55, v61
	v_add_f32_e32 v78, v12, v53
	v_add_f32_e32 v12, v52, v50
	;; [unrolled: 1-line block ×3, first 2 shown]
	v_fma_f32 v79, -0.5, v12, v26
	v_sub_f32_e32 v12, v33, v46
	v_fmac_f32_e32 v77, 0x3e9e377a, v14
	v_fmac_f32_e32 v73, 0x3e9e377a, v14
	v_fmamk_f32 v80, v12, 0x3f737871, v79
	v_sub_f32_e32 v13, v39, v44
	v_sub_f32_e32 v14, v48, v52
	;; [unrolled: 1-line block ×3, first 2 shown]
	v_fmac_f32_e32 v79, 0xbf737871, v12
	v_fmac_f32_e32 v80, 0x3f167918, v13
	v_add_f32_e32 v14, v14, v15
	v_fmac_f32_e32 v79, 0xbf167918, v13
	v_fmac_f32_e32 v80, 0x3e9e377a, v14
	;; [unrolled: 1-line block ×3, first 2 shown]
	v_add_f32_e32 v14, v48, v53
	v_fmac_f32_e32 v26, -0.5, v14
	v_fmamk_f32 v81, v13, 0xbf737871, v26
	v_sub_f32_e32 v14, v52, v48
	v_sub_f32_e32 v15, v50, v53
	v_fmac_f32_e32 v26, 0x3f737871, v13
	s_waitcnt vmcnt(1)
	v_mov_b32_e32 v25, v94
	v_fmac_f32_e32 v81, 0x3f167918, v12
	v_add_f32_e32 v14, v14, v15
	v_fmac_f32_e32 v26, 0xbf167918, v12
	v_mov_b32_e32 v13, v94
	v_mov_b32_e32 v94, v93
	v_fmac_f32_e32 v81, 0x3e9e377a, v14
	v_fmac_f32_e32 v26, 0x3e9e377a, v14
	v_mov_b32_e32 v12, v92
	v_pk_mul_f32 v[14:15], v[10:11], v[94:95]
	v_mov_b32_e32 v24, v93
	v_pk_fma_f32 v[22:23], v[6:7], v[12:13], v[14:15] neg_lo:[0,0,1] neg_hi:[0,0,1]
	v_mov_b32_e32 v12, v6
	v_mov_b32_e32 v13, v11
	v_pk_mul_f32 v[12:13], v[12:13], v[24:25]
	v_mov_b32_e32 v6, v7
	v_mov_b32_e32 v7, v10
	;; [unrolled: 1-line block ×4, first 2 shown]
	v_pk_fma_f32 v[24:25], v[6:7], v[10:11], v[12:13] op_sel:[0,0,1] op_sel_hi:[1,1,0]
	s_waitcnt vmcnt(0)
	v_mov_b32_e32 v7, v98
	v_mov_b32_e32 v98, v97
	;; [unrolled: 1-line block ×3, first 2 shown]
	v_pk_mul_f32 v[10:11], v[8:9], v[98:99]
	v_pk_add_f32 v[12:13], v[22:23], v[22:23] op_sel:[1,0] op_sel_hi:[0,1] neg_lo:[0,1] neg_hi:[0,1]
	v_pk_fma_f32 v[28:29], v[2:3], v[6:7], v[10:11] neg_lo:[0,0,1] neg_hi:[0,0,1]
	v_pk_mul_f32 v[2:3], v[2:3], v[98:99]
	v_pk_add_f32 v[14:15], v[28:29], v[28:29] op_sel:[0,1] op_sel_hi:[1,0] neg_lo:[0,1] neg_hi:[0,1]
	v_pk_fma_f32 v[20:21], v[8:9], v[6:7], v[2:3]
	v_add_f32_e32 v2, v0, v22
	v_add_f32_e32 v2, v2, v23
	v_pk_add_f32 v[6:7], v[22:23], v[28:29] op_sel:[0,1] op_sel_hi:[1,0]
	v_add_f32_e32 v8, v2, v28
	v_pk_add_f32 v[2:3], v[24:25], v[20:21] neg_lo:[0,1] neg_hi:[0,1]
	v_pk_fma_f32 v[6:7], -0.5, v[6:7], v[0:1] op_sel_hi:[0,1,0]
	v_pk_mul_f32 v[10:11], v[2:3], s[12:13] op_sel_hi:[1,0]
	v_pk_add_f32 v[12:13], v[12:13], v[14:15]
	v_pk_fma_f32 v[14:15], v[2:3], s[6:7], v[6:7] op_sel_hi:[1,0,1] neg_lo:[1,0,0] neg_hi:[1,0,0]
	v_pk_fma_f32 v[2:3], v[2:3], s[6:7], v[6:7] op_sel_hi:[1,0,1]
	v_mul_u32_u24_e32 v0, 0x64, v66
	v_mov_b32_e32 v6, v2
	v_mov_b32_e32 v7, v15
	;; [unrolled: 1-line block ×3, first 2 shown]
	v_add3_u32 v57, 0, v0, v100
	v_mul_u32_u24_e32 v0, 0x64, v67
	v_pk_add_f32 v[16:17], v[6:7], v[10:11] op_sel:[0,1] op_sel_hi:[1,0] neg_lo:[0,1] neg_hi:[0,1]
	v_pk_add_f32 v[2:3], v[10:11], v[14:15] op_sel:[1,0] op_sel_hi:[0,1]
	v_add3_u32 v67, 0, v0, v101
	v_mul_u32_u24_e32 v0, 0x64, v75
	v_pk_fma_f32 v[6:7], v[12:13], s[10:11], v[2:3] op_sel_hi:[1,0,1]
	v_pk_fma_f32 v[2:3], v[12:13], s[10:11], v[16:17] op_sel_hi:[1,0,1]
	ds_write2_b32 v57, v19, v38 offset1:5
	ds_write2_b32 v57, v40, v74 offset0:10 offset1:15
	ds_write_b32 v57, v18 offset:80
	ds_write2_b32 v67, v41, v76 offset1:5
	ds_write2_b32 v67, v77, v73 offset0:10 offset1:15
	ds_write_b32 v67, v42 offset:80
	v_add3_u32 v73, 0, v0, v102
	ds_write2_b32 v73, v78, v80 offset1:5
	ds_write2_b32 v73, v81, v26 offset0:10 offset1:15
	ds_write_b32 v73, v79 offset:80
	s_and_saveexec_b64 s[6:7], s[2:3]
	s_xor_b64 s[6:7], exec, s[6:7]
	s_or_saveexec_b64 s[6:7], s[6:7]
	v_add_f32_e32 v38, v8, v29
	v_mul_lo_u16_e32 v66, 25, v36
	v_lshlrev_b32_e32 v74, 2, v27
	s_xor_b64 exec, exec, s[6:7]
	s_cbranch_execz .LBB0_25
; %bb.24:
	v_lshlrev_b32_e32 v0, 2, v66
	v_add3_u32 v0, 0, v74, v0
	ds_write2_b32 v0, v38, v7 offset1:5
	ds_write2_b32 v0, v6, v2 offset0:10 offset1:15
	ds_write_b32 v0, v3 offset:80
.LBB0_25:
	s_or_b64 exec, exec, s[6:7]
	v_add_u32_e32 v0, 0x600, v72
	s_waitcnt lgkmcnt(0)
	s_barrier
	ds_read2_b32 v[16:17], v0 offset0:16 offset1:141
	v_add_u32_e32 v0, 0xa00, v72
	ds_read2_b32 v[8:9], v0 offset0:10 offset1:160
	v_add_u32_e32 v0, 0x1200, v72
	;; [unrolled: 2-line block ×5, first 2 shown]
	ds_read2_b32 v[12:13], v0 offset0:61 offset1:186
	ds_read_b32 v42, v72
	ds_read_b32 v41, v34
	;; [unrolled: 1-line block ×3, first 2 shown]
	v_mov_b32_e32 v26, v29
	v_mov_b32_e32 v27, v28
	v_lshl_add_u32 v36, v69, 2, 0
	s_and_saveexec_b64 s[6:7], s[0:1]
	s_cbranch_execz .LBB0_27
; %bb.26:
	ds_read_b32 v7, v72 offset:3100
	ds_read_b32 v6, v72 offset:4700
	;; [unrolled: 1-line block ×5, first 2 shown]
.LBB0_27:
	s_or_b64 exec, exec, s[6:7]
	v_add_f32_e32 v0, v32, v47
	v_add_f32_e32 v0, v0, v58
	;; [unrolled: 1-line block ×5, first 2 shown]
	v_fma_f32 v75, -0.5, v0, v32
	v_sub_f32_e32 v0, v60, v65
	v_fmamk_f32 v60, v0, 0xbf737871, v75
	v_sub_f32_e32 v28, v63, v64
	v_sub_f32_e32 v63, v47, v58
	;; [unrolled: 1-line block ×3, first 2 shown]
	v_fmac_f32_e32 v75, 0x3f737871, v0
	v_fmac_f32_e32 v60, 0xbf167918, v28
	v_add_f32_e32 v63, v63, v64
	v_fmac_f32_e32 v75, 0x3f167918, v28
	v_fmac_f32_e32 v60, 0x3e9e377a, v63
	;; [unrolled: 1-line block ×3, first 2 shown]
	v_add_f32_e32 v63, v47, v62
	v_fmac_f32_e32 v32, -0.5, v63
	v_fmamk_f32 v63, v28, 0x3f737871, v32
	v_fmac_f32_e32 v32, 0xbf737871, v28
	v_fmac_f32_e32 v63, 0xbf167918, v0
	;; [unrolled: 1-line block ×3, first 2 shown]
	v_add_f32_e32 v0, v31, v43
	v_sub_f32_e32 v47, v58, v47
	v_sub_f32_e32 v58, v59, v62
	v_add_f32_e32 v0, v0, v45
	v_add_f32_e32 v47, v47, v58
	;; [unrolled: 1-line block ×3, first 2 shown]
	v_fmac_f32_e32 v63, 0x3e9e377a, v47
	v_fmac_f32_e32 v32, 0x3e9e377a, v47
	v_add_f32_e32 v47, v0, v51
	v_add_f32_e32 v0, v45, v49
	v_fma_f32 v58, -0.5, v0, v31
	v_sub_f32_e32 v0, v54, v61
	v_fmamk_f32 v54, v0, 0xbf737871, v58
	v_sub_f32_e32 v28, v56, v55
	v_sub_f32_e32 v55, v43, v45
	;; [unrolled: 1-line block ×3, first 2 shown]
	v_fmac_f32_e32 v58, 0x3f737871, v0
	v_fmac_f32_e32 v54, 0xbf167918, v28
	v_add_f32_e32 v55, v55, v56
	v_fmac_f32_e32 v58, 0x3f167918, v28
	v_fmac_f32_e32 v54, 0x3e9e377a, v55
	;; [unrolled: 1-line block ×3, first 2 shown]
	v_add_f32_e32 v55, v43, v51
	v_fmac_f32_e32 v31, -0.5, v55
	v_fmamk_f32 v55, v28, 0x3f737871, v31
	v_fmac_f32_e32 v31, 0xbf737871, v28
	v_fmac_f32_e32 v55, 0xbf167918, v0
	;; [unrolled: 1-line block ×3, first 2 shown]
	v_add_f32_e32 v0, v30, v33
	v_sub_f32_e32 v43, v45, v43
	v_sub_f32_e32 v45, v49, v51
	v_add_f32_e32 v0, v0, v39
	v_add_f32_e32 v43, v43, v45
	;; [unrolled: 1-line block ×3, first 2 shown]
	v_fmac_f32_e32 v55, 0x3e9e377a, v43
	v_fmac_f32_e32 v31, 0x3e9e377a, v43
	v_add_f32_e32 v43, v0, v46
	v_add_f32_e32 v0, v39, v44
	v_fma_f32 v49, -0.5, v0, v30
	v_sub_f32_e32 v0, v48, v53
	v_fmamk_f32 v48, v0, 0xbf737871, v49
	v_sub_f32_e32 v28, v52, v50
	v_sub_f32_e32 v45, v33, v39
	v_sub_f32_e32 v50, v46, v44
	v_fmac_f32_e32 v49, 0x3f737871, v0
	v_fmac_f32_e32 v48, 0xbf167918, v28
	v_add_f32_e32 v45, v45, v50
	v_fmac_f32_e32 v49, 0x3f167918, v28
	v_fmac_f32_e32 v48, 0x3e9e377a, v45
	;; [unrolled: 1-line block ×3, first 2 shown]
	v_add_f32_e32 v45, v33, v46
	v_fmac_f32_e32 v30, -0.5, v45
	v_fmamk_f32 v50, v28, 0x3f737871, v30
	v_fmac_f32_e32 v30, 0xbf737871, v28
	v_fmac_f32_e32 v50, 0xbf167918, v0
	;; [unrolled: 1-line block ×3, first 2 shown]
	v_add_f32_e32 v0, v1, v25
	v_add_f32_e32 v0, v0, v24
	;; [unrolled: 1-line block ×3, first 2 shown]
	v_pk_add_f32 v[22:23], v[22:23], v[26:27] neg_lo:[0,1] neg_hi:[0,1]
	v_pk_add_f32 v[26:27], v[24:25], v[20:21]
	v_mov_b32_e32 v0, v1
	s_mov_b32 s12, 0x3f737871
	v_pk_fma_f32 v[0:1], -0.5, v[26:27], v[0:1] op_sel_hi:[0,1,0]
	v_pk_add_f32 v[24:25], v[24:25], v[24:25] op_sel:[0,1] op_sel_hi:[1,0] neg_lo:[0,1] neg_hi:[0,1]
	v_pk_add_f32 v[26:27], v[20:21], v[20:21] op_sel:[0,1] op_sel_hi:[1,0] neg_lo:[0,1] neg_hi:[0,1]
	s_mov_b32 s10, 0x3f167918
	v_pk_add_f32 v[24:25], v[24:25], v[26:27]
	v_pk_fma_f32 v[26:27], v[22:23], s[12:13], v[0:1] op_sel_hi:[1,0,1]
	v_pk_fma_f32 v[0:1], v[22:23], s[12:13], v[0:1] op_sel_hi:[1,0,1] neg_lo:[1,0,0] neg_hi:[1,0,0]
	v_sub_f32_e32 v33, v39, v33
	v_sub_f32_e32 v39, v44, v46
	v_mov_b32_e32 v44, v1
	v_mov_b32_e32 v45, v26
	;; [unrolled: 1-line block ×4, first 2 shown]
	s_mov_b32 s6, 0x3e9e377a
	v_pk_fma_f32 v[44:45], v[22:23], s[10:11], v[44:45] op_sel_hi:[1,0,1]
	v_pk_fma_f32 v[0:1], v[22:23], s[10:11], v[26:27] op_sel_hi:[1,0,1] neg_lo:[1,0,0] neg_hi:[1,0,0]
	v_add_f32_e32 v33, v33, v39
	v_pk_fma_f32 v[22:23], v[24:25], s[6:7], v[0:1] op_sel_hi:[1,0,1]
	v_pk_fma_f32 v[0:1], v[24:25], s[6:7], v[44:45] op_sel_hi:[1,0,1]
	v_fmac_f32_e32 v50, 0x3e9e377a, v33
	v_fmac_f32_e32 v30, 0x3e9e377a, v33
	s_waitcnt lgkmcnt(0)
	s_barrier
	ds_write2_b32 v57, v29, v60 offset1:5
	ds_write2_b32 v57, v63, v32 offset0:10 offset1:15
	ds_write_b32 v57, v75 offset:80
	ds_write2_b32 v67, v47, v54 offset1:5
	ds_write2_b32 v67, v55, v31 offset0:10 offset1:15
	ds_write_b32 v67, v58 offset:80
	;; [unrolled: 3-line block ×3, first 2 shown]
	s_and_saveexec_b64 s[6:7], s[2:3]
	s_xor_b64 s[2:3], exec, s[6:7]
; %bb.28:
                                        ; implicit-def: $vgpr66
                                        ; implicit-def: $vgpr74
; %bb.29:
	s_or_saveexec_b64 s[2:3], s[2:3]
	v_add_f32_e32 v39, v28, v21
	s_xor_b64 exec, exec, s[2:3]
	s_cbranch_execz .LBB0_31
; %bb.30:
	v_lshlrev_b32_e32 v20, 2, v66
	v_add3_u32 v20, 0, v74, v20
	ds_write2_b32 v20, v39, v23 offset1:5
	ds_write2_b32 v20, v22, v0 offset0:10 offset1:15
	ds_write_b32 v20, v1 offset:80
.LBB0_31:
	s_or_b64 exec, exec, s[2:3]
	v_add_u32_e32 v20, 0x600, v72
	v_add_u32_e32 v24, 0x1200, v72
	;; [unrolled: 1-line block ×3, first 2 shown]
	s_waitcnt lgkmcnt(0)
	s_barrier
	ds_read2_b32 v[30:31], v20 offset0:16 offset1:141
	v_add_u32_e32 v20, 0xa00, v72
	ds_read2_b32 v[32:33], v24 offset0:48 offset1:173
	v_add_u32_e32 v24, 0x1600, v72
	;; [unrolled: 2-line block ×3, first 2 shown]
	ds_read2_b32 v[20:21], v20 offset0:10 offset1:160
	ds_read2_b32 v[24:25], v24 offset0:42 offset1:192
	;; [unrolled: 1-line block ×3, first 2 shown]
	ds_read_b32 v45, v72
	ds_read_b32 v44, v34
	;; [unrolled: 1-line block ×3, first 2 shown]
	s_and_saveexec_b64 s[2:3], s[0:1]
	s_cbranch_execz .LBB0_33
; %bb.32:
	ds_read_b32 v23, v72 offset:3100
	ds_read_b32 v22, v72 offset:4700
	;; [unrolled: 1-line block ×5, first 2 shown]
.LBB0_33:
	s_or_b64 exec, exec, s[2:3]
	v_mov_b32_e32 v46, 41
	v_mul_lo_u16_sdwa v47, v69, v46 dst_sel:DWORD dst_unused:UNUSED_PAD src0_sel:BYTE_0 src1_sel:DWORD
	v_mul_lo_u16_sdwa v46, v71, v46 dst_sel:DWORD dst_unused:UNUSED_PAD src0_sel:BYTE_0 src1_sel:DWORD
	v_lshrrev_b16_e32 v66, 10, v47
	v_lshrrev_b16_e32 v67, 10, v46
	v_mul_lo_u16_e32 v47, 25, v66
	v_mul_lo_u16_e32 v46, 25, v67
	v_sub_u16_e32 v47, v69, v47
	v_mov_b32_e32 v48, 5
	v_sub_u16_e32 v46, v71, v46
	v_lshlrev_b32_sdwa v49, v48, v47 dst_sel:DWORD dst_unused:UNUSED_PAD src0_sel:DWORD src1_sel:BYTE_0
	v_lshlrev_b32_sdwa v48, v48, v46 dst_sel:DWORD dst_unused:UNUSED_PAD src0_sel:DWORD src1_sel:BYTE_0
	s_movk_i32 s2, 0x47af
	global_load_dwordx4 v[54:57], v49, s[4:5] offset:160
	global_load_dwordx4 v[58:61], v49, s[4:5] offset:176
	;; [unrolled: 1-line block ×4, first 2 shown]
	v_mul_u32_u24_sdwa v48, v70, s2 dst_sel:DWORD dst_unused:UNUSED_PAD src0_sel:WORD_0 src1_sel:DWORD
	v_sub_u16_sdwa v50, v70, v48 dst_sel:DWORD dst_unused:UNUSED_PAD src0_sel:DWORD src1_sel:WORD_1
	v_lshrrev_b16_e32 v50, 1, v50
	v_add_u16_sdwa v48, v50, v48 dst_sel:DWORD dst_unused:UNUSED_PAD src0_sel:DWORD src1_sel:WORD_1
	v_lshrrev_b16_e32 v71, 4, v48
	v_mul_lo_u16_e32 v48, 25, v71
	v_sub_u16_e32 v48, v70, v48
	v_mul_u32_u24_sdwa v49, v37, s2 dst_sel:DWORD dst_unused:UNUSED_PAD src0_sel:WORD_0 src1_sel:DWORD
	v_lshlrev_b32_e32 v50, 5, v48
	global_load_dwordx4 v[78:81], v50, s[4:5] offset:176
	global_load_dwordx4 v[82:85], v50, s[4:5] offset:160
	v_sub_u16_sdwa v50, v37, v49 dst_sel:DWORD dst_unused:UNUSED_PAD src0_sel:DWORD src1_sel:WORD_1
	v_lshrrev_b16_e32 v50, 1, v50
	v_add_u16_sdwa v49, v50, v49 dst_sel:DWORD dst_unused:UNUSED_PAD src0_sel:DWORD src1_sel:WORD_1
	v_lshrrev_b16_e32 v49, 4, v49
	v_mul_lo_u16_e32 v49, 25, v49
	v_sub_u16_e32 v70, v37, v49
	v_lshlrev_b32_e32 v37, 5, v70
	global_load_dwordx4 v[86:89], v37, s[4:5] offset:160
	global_load_dwordx4 v[90:93], v37, s[4:5] offset:176
	v_mov_b32_e32 v37, 2
	v_lshlrev_b32_sdwa v73, v37, v47 dst_sel:DWORD dst_unused:UNUSED_PAD src0_sel:DWORD src1_sel:BYTE_0
	v_lshlrev_b32_sdwa v94, v37, v46 dst_sel:DWORD dst_unused:UNUSED_PAD src0_sel:DWORD src1_sel:BYTE_0
	v_lshlrev_b32_e32 v95, 2, v48
	s_waitcnt lgkmcnt(0)
	s_barrier
	s_waitcnt vmcnt(7)
	v_mul_f32_e32 v53, v30, v55
	v_mul_f32_e32 v49, v16, v55
	v_mul_f32_e32 v55, v21, v57
	v_mul_f32_e32 v50, v9, v57
	s_waitcnt vmcnt(6)
	v_mul_f32_e32 v57, v32, v59
	v_mul_f32_e32 v51, v18, v59
	v_mul_f32_e32 v59, v25, v61
	v_mul_f32_e32 v52, v11, v61
	;; [unrolled: 5-line block ×4, first 2 shown]
	v_fmac_f32_e32 v50, v21, v56
	v_fma_f32 v21, v18, v58, -v57
	v_fmac_f32_e32 v52, v25, v60
	v_fma_f32 v18, v19, v74, -v65
	v_fmac_f32_e32 v47, v33, v74
	v_fma_f32 v19, v12, v76, -v75
	s_waitcnt vmcnt(2)
	v_mul_f32_e32 v25, v20, v83
	v_mul_f32_e32 v12, v10, v79
	s_waitcnt vmcnt(1)
	v_mul_f32_e32 v33, v23, v87
	v_fmac_f32_e32 v49, v30, v54
	v_fma_f32 v30, v9, v56, -v55
	v_fmac_f32_e32 v46, v28, v64
	v_fmac_f32_e32 v48, v26, v76
	v_mul_f32_e32 v9, v8, v83
	v_mul_f32_e32 v26, v29, v85
	;; [unrolled: 1-line block ×3, first 2 shown]
	v_fma_f32 v8, v8, v82, -v25
	v_fmac_f32_e32 v12, v24, v78
	v_fma_f32 v25, v7, v86, -v33
	v_mul_f32_e32 v24, v7, v87
	v_mul_f32_e32 v7, v22, v89
	v_fmac_f32_e32 v51, v32, v58
	v_fma_f32 v32, v11, v60, -v59
	v_mul_f32_e32 v11, v15, v85
	v_fma_f32 v15, v15, v84, -v26
	v_fmac_f32_e32 v24, v23, v86
	v_fma_f32 v26, v6, v88, -v7
	v_mul_f32_e32 v23, v6, v89
	s_waitcnt vmcnt(0)
	v_mul_f32_e32 v6, v0, v91
	v_fmac_f32_e32 v23, v22, v88
	v_fma_f32 v22, v2, v90, -v6
	v_mul_f32_e32 v2, v2, v91
	v_fma_f32 v53, v16, v54, -v53
	v_fma_f32 v16, v17, v62, -v61
	;; [unrolled: 1-line block ×3, first 2 shown]
	v_mul_f32_e32 v14, v13, v81
	v_fmac_f32_e32 v2, v0, v90
	v_mul_f32_e32 v0, v1, v93
	v_fmac_f32_e32 v37, v31, v62
	;; [unrolled: 2-line block ×3, first 2 shown]
	v_fma_f32 v27, v3, v92, -v0
	v_mul_f32_e32 v0, v3, v93
	v_add_f32_e32 v3, v30, v21
	v_fma_f32 v6, -0.5, v3, v42
	v_sub_f32_e32 v3, v49, v52
	v_fmac_f32_e32 v9, v20, v82
	v_fmac_f32_e32 v11, v29, v84
	v_fma_f32 v10, v10, v78, -v28
	v_fmamk_f32 v7, v3, 0x3f737871, v6
	v_sub_f32_e32 v20, v50, v51
	v_sub_f32_e32 v28, v53, v30
	v_sub_f32_e32 v29, v32, v21
	v_fmac_f32_e32 v6, 0xbf737871, v3
	v_fmac_f32_e32 v7, 0x3f167918, v20
	v_add_f32_e32 v28, v28, v29
	v_fmac_f32_e32 v6, 0xbf167918, v20
	v_fmac_f32_e32 v7, 0x3e9e377a, v28
	;; [unrolled: 1-line block ×3, first 2 shown]
	v_add_f32_e32 v28, v53, v32
	v_fmac_f32_e32 v0, v1, v92
	v_add_f32_e32 v1, v42, v53
	v_fmac_f32_e32 v42, -0.5, v28
	v_fmamk_f32 v28, v20, 0xbf737871, v42
	v_fmac_f32_e32 v42, 0x3f737871, v20
	v_fmac_f32_e32 v28, 0x3f167918, v3
	;; [unrolled: 1-line block ×3, first 2 shown]
	v_add_f32_e32 v3, v41, v16
	v_add_f32_e32 v3, v3, v17
	v_fma_f32 v13, v13, v80, -v31
	v_sub_f32_e32 v29, v30, v53
	v_sub_f32_e32 v31, v21, v32
	v_add_f32_e32 v3, v3, v18
	v_add_f32_e32 v29, v29, v31
	;; [unrolled: 1-line block ×4, first 2 shown]
	v_fmac_f32_e32 v28, 0x3e9e377a, v29
	v_fmac_f32_e32 v42, 0x3e9e377a, v29
	v_fma_f32 v29, -0.5, v3, v41
	v_sub_f32_e32 v3, v37, v48
	v_fmamk_f32 v31, v3, 0x3f737871, v29
	v_sub_f32_e32 v33, v46, v47
	v_sub_f32_e32 v54, v16, v17
	;; [unrolled: 1-line block ×3, first 2 shown]
	v_fmac_f32_e32 v29, 0xbf737871, v3
	v_fmac_f32_e32 v31, 0x3f167918, v33
	v_add_f32_e32 v54, v54, v55
	v_fmac_f32_e32 v29, 0xbf167918, v33
	v_fmac_f32_e32 v31, 0x3e9e377a, v54
	;; [unrolled: 1-line block ×3, first 2 shown]
	v_add_f32_e32 v54, v16, v19
	v_fmac_f32_e32 v41, -0.5, v54
	v_fmamk_f32 v54, v33, 0xbf737871, v41
	v_fmac_f32_e32 v41, 0x3f737871, v33
	v_fmac_f32_e32 v54, 0x3f167918, v3
	;; [unrolled: 1-line block ×3, first 2 shown]
	v_add_f32_e32 v3, v40, v8
	v_add_f32_e32 v3, v3, v15
	v_sub_f32_e32 v55, v17, v16
	v_sub_f32_e32 v56, v18, v19
	v_add_f32_e32 v3, v3, v10
	v_add_f32_e32 v55, v55, v56
	;; [unrolled: 1-line block ×4, first 2 shown]
	v_fmac_f32_e32 v54, 0x3e9e377a, v55
	v_fmac_f32_e32 v41, 0x3e9e377a, v55
	v_fma_f32 v55, -0.5, v3, v40
	v_sub_f32_e32 v3, v9, v14
	v_fmamk_f32 v56, v3, 0x3f737871, v55
	v_sub_f32_e32 v57, v11, v12
	v_sub_f32_e32 v58, v8, v15
	;; [unrolled: 1-line block ×3, first 2 shown]
	v_fmac_f32_e32 v55, 0xbf737871, v3
	v_fmac_f32_e32 v56, 0x3f167918, v57
	v_add_f32_e32 v58, v58, v59
	v_fmac_f32_e32 v55, 0xbf167918, v57
	v_fmac_f32_e32 v56, 0x3e9e377a, v58
	;; [unrolled: 1-line block ×3, first 2 shown]
	v_add_f32_e32 v58, v8, v13
	v_fmac_f32_e32 v40, -0.5, v58
	v_add_f32_e32 v1, v1, v30
	v_fmamk_f32 v58, v57, 0xbf737871, v40
	v_fmac_f32_e32 v40, 0x3f737871, v57
	v_add_f32_e32 v1, v1, v21
	v_fmac_f32_e32 v58, 0x3f167918, v3
	v_fmac_f32_e32 v40, 0xbf167918, v3
	v_mul_u32_u24_e32 v3, 0x1f4, v66
	v_add_f32_e32 v1, v1, v32
	v_add3_u32 v3, 0, v3, v73
	ds_write2_b32 v3, v1, v7 offset1:25
	ds_write2_b32 v3, v28, v42 offset0:50 offset1:75
	ds_write_b32 v3, v6 offset:400
	v_mul_u32_u24_e32 v1, 0x1f4, v67
	v_sub_f32_e32 v59, v15, v8
	v_sub_f32_e32 v60, v10, v13
	v_add3_u32 v28, 0, v1, v94
	v_mul_u32_u24_e32 v1, 0x1f4, v71
	v_add_f32_e32 v59, v59, v60
	ds_write2_b32 v28, v20, v31 offset1:25
	ds_write2_b32 v28, v54, v41 offset0:50 offset1:75
	ds_write_b32 v28, v29 offset:400
	v_add3_u32 v29, 0, v1, v95
	v_lshl_add_u32 v1, v70, 2, 0
	v_fmac_f32_e32 v58, 0x3e9e377a, v59
	v_fmac_f32_e32 v40, 0x3e9e377a, v59
	ds_write2_b32 v29, v33, v56 offset1:25
	ds_write2_b32 v29, v58, v40 offset0:50 offset1:75
	ds_write_b32 v29, v55 offset:400
	s_and_saveexec_b64 s[2:3], s[0:1]
	s_cbranch_execz .LBB0_35
; %bb.34:
	v_sub_f32_e32 v6, v26, v25
	v_sub_f32_e32 v7, v22, v27
	v_add_f32_e32 v6, v6, v7
	v_add_f32_e32 v7, v25, v27
	v_fma_f32 v7, -0.5, v7, v38
	v_sub_f32_e32 v20, v23, v2
	v_fmamk_f32 v31, v20, 0x3f737871, v7
	v_sub_f32_e32 v33, v24, v0
	v_fmac_f32_e32 v7, 0xbf737871, v20
	v_fmac_f32_e32 v31, 0xbf167918, v33
	;; [unrolled: 1-line block ×5, first 2 shown]
	v_sub_f32_e32 v6, v25, v26
	v_sub_f32_e32 v40, v27, v22
	v_add_f32_e32 v6, v6, v40
	v_add_f32_e32 v40, v26, v22
	v_fma_f32 v40, -0.5, v40, v38
	v_fmamk_f32 v41, v33, 0xbf737871, v40
	v_fmac_f32_e32 v40, 0x3f737871, v33
	v_fmac_f32_e32 v41, 0xbf167918, v20
	;; [unrolled: 1-line block ×5, first 2 shown]
	v_add_f32_e32 v6, v38, v25
	v_add_f32_e32 v6, v6, v26
	;; [unrolled: 1-line block ×4, first 2 shown]
	v_add_u32_e32 v20, 0x1c00, v1
	ds_write2_b32 v20, v6, v40 offset0:83 offset1:108
	ds_write2_b32 v20, v7, v31 offset0:133 offset1:158
	ds_write_b32 v1, v41 offset:7900
.LBB0_35:
	s_or_b64 exec, exec, s[2:3]
	v_add_f32_e32 v6, v45, v49
	v_add_f32_e32 v6, v6, v50
	;; [unrolled: 1-line block ×5, first 2 shown]
	v_fma_f32 v33, -0.5, v6, v45
	v_sub_f32_e32 v6, v53, v32
	v_fmamk_f32 v32, v6, 0xbf737871, v33
	v_sub_f32_e32 v7, v30, v21
	v_sub_f32_e32 v20, v49, v50
	;; [unrolled: 1-line block ×3, first 2 shown]
	v_fmac_f32_e32 v33, 0x3f737871, v6
	v_fmac_f32_e32 v32, 0xbf167918, v7
	v_add_f32_e32 v20, v20, v21
	v_fmac_f32_e32 v33, 0x3f167918, v7
	v_fmac_f32_e32 v32, 0x3e9e377a, v20
	;; [unrolled: 1-line block ×3, first 2 shown]
	v_add_f32_e32 v20, v49, v52
	v_fmac_f32_e32 v45, -0.5, v20
	v_fmamk_f32 v30, v7, 0x3f737871, v45
	v_fmac_f32_e32 v45, 0xbf737871, v7
	v_fmac_f32_e32 v30, 0xbf167918, v6
	;; [unrolled: 1-line block ×3, first 2 shown]
	v_add_f32_e32 v6, v44, v37
	v_add_f32_e32 v6, v6, v46
	v_add_f32_e32 v6, v6, v47
	v_add_f32_e32 v38, v6, v48
	v_add_f32_e32 v6, v46, v47
	v_fma_f32 v40, -0.5, v6, v44
	v_sub_f32_e32 v6, v16, v19
	v_fmamk_f32 v41, v6, 0xbf737871, v40
	v_sub_f32_e32 v7, v17, v18
	v_sub_f32_e32 v16, v37, v46
	v_sub_f32_e32 v17, v48, v47
	v_fmac_f32_e32 v40, 0x3f737871, v6
	v_fmac_f32_e32 v41, 0xbf167918, v7
	v_add_f32_e32 v16, v16, v17
	v_fmac_f32_e32 v40, 0x3f167918, v7
	v_fmac_f32_e32 v41, 0x3e9e377a, v16
	;; [unrolled: 1-line block ×3, first 2 shown]
	v_add_f32_e32 v16, v37, v48
	v_fmac_f32_e32 v44, -0.5, v16
	v_fmamk_f32 v42, v7, 0x3f737871, v44
	v_fmac_f32_e32 v44, 0xbf737871, v7
	v_fmac_f32_e32 v42, 0xbf167918, v6
	;; [unrolled: 1-line block ×3, first 2 shown]
	v_add_f32_e32 v6, v43, v9
	v_add_f32_e32 v6, v6, v11
	v_add_f32_e32 v6, v6, v12
	v_sub_f32_e32 v16, v46, v37
	v_add_f32_e32 v37, v6, v14
	v_add_f32_e32 v6, v11, v12
	v_fma_f32 v46, -0.5, v6, v43
	v_sub_f32_e32 v6, v8, v13
	v_sub_f32_e32 v17, v47, v48
	v_fmamk_f32 v47, v6, 0xbf737871, v46
	v_sub_f32_e32 v7, v15, v10
	v_sub_f32_e32 v8, v9, v11
	;; [unrolled: 1-line block ×3, first 2 shown]
	v_fmac_f32_e32 v46, 0x3f737871, v6
	v_fmac_f32_e32 v47, 0xbf167918, v7
	v_add_f32_e32 v8, v8, v10
	v_fmac_f32_e32 v46, 0x3f167918, v7
	v_fmac_f32_e32 v47, 0x3e9e377a, v8
	;; [unrolled: 1-line block ×3, first 2 shown]
	v_add_f32_e32 v8, v9, v14
	v_fmac_f32_e32 v43, -0.5, v8
	v_fmamk_f32 v48, v7, 0x3f737871, v43
	v_sub_f32_e32 v8, v11, v9
	v_sub_f32_e32 v9, v12, v14
	v_fmac_f32_e32 v43, 0xbf737871, v7
	v_sub_f32_e32 v20, v50, v49
	v_sub_f32_e32 v21, v51, v52
	v_fmac_f32_e32 v48, 0xbf167918, v6
	v_add_f32_e32 v8, v8, v9
	v_fmac_f32_e32 v43, 0x3f167918, v6
	v_add_f32_e32 v20, v20, v21
	v_add_f32_e32 v16, v16, v17
	v_fmac_f32_e32 v48, 0x3e9e377a, v8
	v_fmac_f32_e32 v43, 0x3e9e377a, v8
	v_add_u32_e32 v8, 0x600, v72
	v_fmac_f32_e32 v30, 0x3e9e377a, v20
	v_fmac_f32_e32 v45, 0x3e9e377a, v20
	v_fmac_f32_e32 v42, 0x3e9e377a, v16
	v_fmac_f32_e32 v44, 0x3e9e377a, v16
	s_waitcnt lgkmcnt(0)
	s_barrier
	ds_read_b32 v7, v72
	ds_read_b32 v11, v34
	;; [unrolled: 1-line block ×3, first 2 shown]
	ds_read_b32 v10, v36 offset:1500
	ds_read2_b32 v[20:21], v8 offset0:116 offset1:241
	v_add_u32_e32 v8, 0xa00, v72
	v_add_u32_e32 v16, 0x1600, v72
	ds_read2_b32 v[14:15], v8 offset0:110 offset1:235
	v_add_u32_e32 v8, 0xe00, v72
	v_add_u32_e32 v12, 0x1200, v72
	ds_read2_b32 v[18:19], v16 offset0:92 offset1:217
	v_add_u32_e32 v16, 0x1a00, v72
	ds_read2_b32 v[8:9], v8 offset0:104 offset1:229
	ds_read2_b32 v[12:13], v12 offset0:98 offset1:223
	;; [unrolled: 1-line block ×3, first 2 shown]
	s_waitcnt lgkmcnt(0)
	s_barrier
	ds_write2_b32 v3, v31, v32 offset1:25
	ds_write2_b32 v3, v30, v45 offset0:50 offset1:75
	ds_write_b32 v3, v33 offset:400
	ds_write2_b32 v28, v38, v41 offset1:25
	ds_write2_b32 v28, v42, v44 offset0:50 offset1:75
	ds_write_b32 v28, v40 offset:400
	ds_write2_b32 v29, v37, v47 offset1:25
	ds_write2_b32 v29, v48, v43 offset0:50 offset1:75
	ds_write_b32 v29, v46 offset:400
	s_and_saveexec_b64 s[2:3], s[0:1]
	s_cbranch_execz .LBB0_37
; %bb.36:
	v_add_f32_e32 v28, v23, v2
	v_fma_f32 v28, -0.5, v28, v39
	v_sub_f32_e32 v25, v25, v27
	v_fmamk_f32 v27, v25, 0xbf737871, v28
	v_sub_f32_e32 v22, v26, v22
	v_sub_f32_e32 v26, v24, v23
	;; [unrolled: 1-line block ×3, first 2 shown]
	v_fmac_f32_e32 v28, 0x3f737871, v25
	v_add_f32_e32 v3, v39, v24
	v_fmac_f32_e32 v27, 0xbf167918, v22
	v_add_f32_e32 v26, v26, v29
	;; [unrolled: 2-line block ×3, first 2 shown]
	v_fmac_f32_e32 v27, 0x3e9e377a, v26
	v_fmac_f32_e32 v28, 0x3e9e377a, v26
	v_add_f32_e32 v26, v24, v0
	v_add_f32_e32 v3, v3, v2
	v_fmac_f32_e32 v39, -0.5, v26
	v_add_f32_e32 v3, v3, v0
	v_fmamk_f32 v26, v22, 0x3f737871, v39
	v_sub_f32_e32 v23, v23, v24
	v_sub_f32_e32 v0, v2, v0
	v_fmac_f32_e32 v39, 0xbf737871, v22
	v_fmac_f32_e32 v26, 0xbf167918, v25
	v_add_f32_e32 v0, v23, v0
	v_fmac_f32_e32 v39, 0x3f167918, v25
	v_fmac_f32_e32 v26, 0x3e9e377a, v0
	;; [unrolled: 1-line block ×3, first 2 shown]
	v_add_u32_e32 v0, 0x1c00, v1
	ds_write2_b32 v0, v3, v27 offset0:83 offset1:108
	ds_write2_b32 v0, v26, v39 offset0:133 offset1:158
	ds_write_b32 v1, v28 offset:7900
.LBB0_37:
	s_or_b64 exec, exec, s[2:3]
	s_waitcnt lgkmcnt(0)
	s_barrier
	s_and_saveexec_b64 s[0:1], vcc
	s_cbranch_execz .LBB0_39
; %bb.38:
	v_mul_u32_u24_e32 v0, 15, v69
	v_lshlrev_b32_e32 v37, 3, v0
	global_load_dwordx4 v[0:3], v37, s[4:5] offset:960
	v_add_u32_e32 v26, 0xa00, v72
	v_add_u32_e32 v27, 0x1a00, v72
	;; [unrolled: 1-line block ×6, first 2 shown]
	ds_read_b32 v23, v72
	ds_read_b32 v98, v35
	ds_read_b32 v35, v34
	ds_read2_b32 v[54:55], v22 offset0:98 offset1:223
	ds_read2_b32 v[56:57], v26 offset0:110 offset1:235
	ds_read2_b32 v[58:59], v27 offset0:86 offset1:211
	ds_read2_b32 v[60:61], v28 offset0:116 offset1:241
	ds_read2_b32 v[62:63], v29 offset0:92 offset1:217
	ds_read2_b32 v[64:65], v30 offset0:104 offset1:229
	global_load_dwordx4 v[26:29], v37, s[4:5] offset:1024
	global_load_dwordx4 v[30:33], v37, s[4:5] offset:1008
	;; [unrolled: 1-line block ×6, first 2 shown]
	v_mad_u64_u32 v[24:25], s[0:1], s8, v68, 0
	v_add_u32_e32 v69, 0x7d, v68
	v_add_u32_e32 v85, 0xfa, v68
	v_mov_b32_e32 v22, v25
	v_mad_u64_u32 v[66:67], s[0:1], s8, v69, 0
	v_mad_u64_u32 v[70:71], s[0:1], s8, v85, 0
	s_waitcnt lgkmcnt(8)
	v_mad_u64_u32 v[82:83], s[0:1], s9, v68, v[22:23]
	v_mov_b32_e32 v22, v67
	v_mov_b32_e32 v34, v71
	;; [unrolled: 1-line block ×3, first 2 shown]
	v_mad_u64_u32 v[82:83], s[0:1], s9, v69, v[22:23]
	s_waitcnt lgkmcnt(6)
	v_mad_u64_u32 v[94:95], s[0:1], s9, v85, v[34:35]
	v_add_u32_e32 v97, 0x3e8, v68
	v_add_u32_e32 v87, 0x177, v68
	v_mad_u64_u32 v[72:73], s[0:1], s8, v87, 0
	v_mov_b32_e32 v67, v82
	v_add_u32_e32 v69, 0x465, v68
	v_add_u32_e32 v89, 0x1f4, v68
	;; [unrolled: 1-line block ×5, first 2 shown]
	v_mov_b32_e32 v84, v73
	v_mad_u64_u32 v[74:75], s[0:1], s8, v89, 0
	v_mad_u64_u32 v[76:77], s[0:1], s8, v91, 0
	;; [unrolled: 1-line block ×5, first 2 shown]
	v_mov_b32_e32 v86, v75
	v_mov_b32_e32 v88, v77
	;; [unrolled: 1-line block ×5, first 2 shown]
	v_mad_u64_u32 v[86:87], s[0:1], s9, v89, v[86:87]
	v_mad_u64_u32 v[88:89], s[0:1], s9, v91, v[88:89]
	;; [unrolled: 1-line block ×4, first 2 shown]
	v_mov_b32_e32 v71, v94
	s_waitcnt lgkmcnt(4)
	v_mov_b32_e32 v94, v56
	s_waitcnt lgkmcnt(2)
	v_mov_b32_e32 v95, v60
	v_mov_b32_e32 v96, v14
	;; [unrolled: 1-line block ×5, first 2 shown]
	s_waitcnt lgkmcnt(1)
	v_mov_b32_e32 v103, v62
	v_mov_b32_e32 v77, v88
	;; [unrolled: 1-line block ×6, first 2 shown]
	s_mov_b32 s2, 0x3ec3ef15
	v_lshl_add_u64 v[24:25], v[24:25], 3, v[4:5]
	s_waitcnt vmcnt(6)
	v_mul_f32_e32 v22, v6, v3
	v_mul_f32_e32 v34, v98, v3
	v_fmac_f32_e32 v22, v2, v98
	global_load_dwordx2 v[98:99], v37, s[4:5] offset:1072
	v_fma_f32 v6, v6, v2, -v34
	v_mad_u64_u32 v[2:3], s[0:1], s8, v97, 0
	v_mov_b32_e32 v34, v3
	v_mad_u64_u32 v[82:83], s[0:1], s9, v97, v[34:35]
	v_mov_b32_e32 v3, v82
	;; [unrolled: 2-line block ×3, first 2 shown]
	v_mad_u64_u32 v[84:85], s[0:1], s9, v69, v[34:35]
	v_add_u32_e32 v69, 0x4e2, v68
	v_mov_b32_e32 v83, v84
	v_mad_u64_u32 v[84:85], s[0:1], s8, v69, 0
	v_mov_b32_e32 v34, v85
	s_waitcnt vmcnt(3)
	v_mov_b32_e32 v93, v44
	v_mov_b32_e32 v97, v20
	;; [unrolled: 1-line block ×3, first 2 shown]
	v_mad_u64_u32 v[86:87], s[0:1], s9, v69, v[34:35]
	v_add_u32_e32 v69, 0x55f, v68
	v_mov_b32_e32 v92, v40
	v_pk_mul_f32 v[40:41], v[96:97], v[44:45]
	v_pk_mul_f32 v[44:45], v[94:95], v[44:45]
	v_mov_b32_e32 v85, v86
	v_mad_u64_u32 v[86:87], s[0:1], s8, v69, 0
	v_pk_fma_f32 v[40:41], v[92:93], v[94:95], v[40:41]
	s_waitcnt vmcnt(2)
	v_mov_b32_e32 v101, v48
	v_pk_fma_f32 v[44:45], v[96:97], v[92:93], v[44:45] neg_lo:[0,0,1] neg_hi:[0,0,1]
	v_mov_b32_e32 v92, v16
	v_mov_b32_e32 v93, v18
	s_waitcnt vmcnt(1)
	v_mov_b32_e32 v48, v53
	v_mov_b32_e32 v34, v87
	;; [unrolled: 1-line block ×3, first 2 shown]
	v_pk_mul_f32 v[52:53], v[92:93], v[48:49]
	v_pk_mul_f32 v[48:49], v[102:103], v[48:49]
	v_mad_u64_u32 v[88:89], s[0:1], s9, v69, v[34:35]
	v_mov_b32_e32 v91, v32
	v_pk_fma_f32 v[48:49], v[92:93], v[100:101], v[48:49] neg_lo:[0,0,1] neg_hi:[0,0,1]
	v_mov_b32_e32 v92, v54
	s_waitcnt lgkmcnt(0)
	v_mov_b32_e32 v93, v64
	v_mov_b32_e32 v32, v29
	;; [unrolled: 1-line block ×3, first 2 shown]
	v_add_u32_e32 v34, 0x5dc, v68
	v_mov_b32_e32 v88, v12
	v_mov_b32_e32 v89, v8
	;; [unrolled: 1-line block ×3, first 2 shown]
	v_pk_mul_f32 v[28:29], v[92:93], v[32:33]
	v_pk_mul_f32 v[32:33], v[88:89], v[32:33]
	v_pk_fma_f32 v[28:29], v[88:89], v[90:91], v[28:29] neg_lo:[0,0,1] neg_hi:[0,0,1]
	v_mad_u64_u32 v[88:89], s[0:1], s8, v34, 0
	v_mov_b32_e32 v8, v89
	v_pk_fma_f32 v[32:33], v[92:93], v[90:91], v[32:33]
	v_mad_u64_u32 v[90:91], s[0:1], s9, v34, v[8:9]
	v_add_u32_e32 v12, 0x659, v68
	ds_read_b32 v34, v36 offset:1500
	v_mov_b32_e32 v89, v90
	v_mov_b32_e32 v90, v42
	;; [unrolled: 1-line block ×4, first 2 shown]
	v_mad_u64_u32 v[42:43], s[0:1], s8, v12, 0
	v_mov_b32_e32 v21, v30
	v_mov_b32_e32 v30, v39
	;; [unrolled: 1-line block ×3, first 2 shown]
	v_pk_mul_f32 v[60:61], v[14:15], v[30:31]
	v_pk_mul_f32 v[30:31], v[56:57], v[30:31]
	v_mov_b32_e32 v20, v38
	v_mad_u64_u32 v[92:93], s[0:1], s9, v12, v[8:9]
	v_add_u32_e32 v12, 0x6d6, v68
	v_pk_fma_f32 v[38:39], v[56:57], v[20:21], v[60:61]
	v_pk_fma_f32 v[14:15], v[14:15], v[20:21], v[30:31] neg_lo:[0,0,1] neg_hi:[0,0,1]
	s_waitcnt vmcnt(0)
	v_mov_b32_e32 v21, v98
	v_mov_b32_e32 v98, v51
	;; [unrolled: 1-line block ×6, first 2 shown]
	v_mad_u64_u32 v[46:47], s[0:1], s8, v12, 0
	v_mov_b32_e32 v20, v50
	v_mov_b32_e32 v16, v19
	v_pk_mul_f32 v[30:31], v[58:59], v[98:99]
	v_mov_b32_e32 v8, v47
	v_pk_mul_f32 v[18:19], v[16:17], v[98:99]
	v_pk_fma_f32 v[16:17], v[16:17], v[20:21], v[30:31] neg_lo:[0,0,1] neg_hi:[0,0,1]
	s_waitcnt lgkmcnt(0)
	v_pk_mul_f32 v[30:31], v[34:35], v[0:1]
	v_mov_b32_e32 v64, v55
	v_mad_u64_u32 v[94:95], s[0:1], s9, v12, v[8:9]
	v_pk_fma_f32 v[30:31], v[10:11], v[90:91], v[30:31] neg_lo:[0,0,1] neg_hi:[0,0,1]
	v_mov_b32_e32 v8, v13
	v_pk_mul_f32 v[0:1], v[10:11], v[0:1]
	v_pk_mul_f32 v[10:11], v[64:65], v[26:27]
	v_pk_add_f32 v[48:49], v[44:45], v[48:49] neg_lo:[0,1] neg_hi:[0,1]
	v_pk_add_f32 v[32:33], v[22:23], v[32:33] neg_lo:[0,1] neg_hi:[0,1]
	v_pk_fma_f32 v[10:11], v[8:9], v[92:93], v[10:11] neg_lo:[0,0,1] neg_hi:[0,0,1]
	v_pk_mul_f32 v[8:9], v[8:9], v[26:27]
	v_pk_fma_f32 v[52:53], v[100:101], v[102:103], v[52:53]
	v_pk_fma_f32 v[18:19], v[58:59], v[20:21], v[18:19]
	v_pk_add_f32 v[20:21], v[48:49], v[32:33]
	v_pk_add_f32 v[10:11], v[30:31], v[10:11] neg_lo:[0,1] neg_hi:[0,1]
	v_pk_fma_f32 v[0:1], v[90:91], v[34:35], v[0:1]
	v_pk_fma_f32 v[8:9], v[92:93], v[64:65], v[8:9]
	v_pk_add_f32 v[28:29], v[6:7], v[28:29] neg_lo:[0,1] neg_hi:[0,1]
	v_pk_add_f32 v[52:53], v[40:41], v[52:53] neg_lo:[0,1] neg_hi:[0,1]
	;; [unrolled: 1-line block ×3, first 2 shown]
	v_mov_b32_e32 v20, v11
	v_pk_add_f32 v[16:17], v[14:15], v[16:17] neg_lo:[0,1] neg_hi:[0,1]
	v_pk_add_f32 v[8:9], v[0:1], v[8:9] neg_lo:[0,1] neg_hi:[0,1]
	v_mov_b32_e32 v18, v13
	v_pk_add_f32 v[34:35], v[20:21], v[12:13] neg_lo:[0,1] neg_hi:[0,1]
	v_pk_fma_f32 v[6:7], v[6:7], 2.0, v[28:29] op_sel_hi:[1,0,1] neg_lo:[0,0,1] neg_hi:[0,0,1]
	v_pk_fma_f32 v[44:45], v[44:45], 2.0, v[48:49] op_sel_hi:[1,0,1] neg_lo:[0,0,1] neg_hi:[0,0,1]
	;; [unrolled: 1-line block ×8, first 2 shown]
	v_pk_add_f32 v[18:19], v[10:11], v[18:19] neg_lo:[0,1] neg_hi:[0,1]
	v_mov_b32_e32 v27, v8
	v_pk_add_f32 v[44:45], v[6:7], v[44:45] neg_lo:[0,1] neg_hi:[0,1]
	v_pk_add_f32 v[40:41], v[22:23], v[40:41] neg_lo:[0,1] neg_hi:[0,1]
	v_pk_add_f32 v[14:15], v[30:31], v[14:15] op_sel:[0,1] op_sel_hi:[1,0] neg_lo:[0,1] neg_hi:[0,1]
	v_pk_add_f32 v[12:13], v[0:1], v[12:13] op_sel:[1,0] op_sel_hi:[0,1] neg_lo:[0,1] neg_hi:[0,1]
	v_mov_b32_e32 v37, v32
	v_mov_b32_e32 v69, v48
	v_pk_add_f32 v[50:51], v[28:29], v[52:53] neg_lo:[0,1] neg_hi:[0,1]
	v_mov_b32_e32 v19, v16
	v_pk_add_f32 v[26:27], v[26:27], v[16:17]
	v_pk_add_f32 v[48:49], v[44:45], v[40:41] op_sel:[0,1] op_sel_hi:[1,0] neg_lo:[0,1] neg_hi:[0,1]
	v_pk_add_f32 v[52:53], v[44:45], v[40:41] op_sel:[0,1] op_sel_hi:[1,0]
	v_pk_add_f32 v[16:17], v[14:15], v[12:13] neg_lo:[0,1] neg_hi:[0,1]
	v_pk_add_f32 v[38:39], v[14:15], v[12:13]
	v_mov_b32_e32 v47, v94
	v_pk_add_f32 v[94:95], v[36:37], v[68:69]
	v_pk_add_f32 v[54:55], v[8:9], v[18:19]
	v_mov_b32_e32 v53, v49
	v_mov_b32_e32 v39, v17
	s_mov_b32 s0, 0x3f3504f3
	v_pk_mul_f32 v[58:59], v[38:39], s[0:1] op_sel_hi:[1,0]
	v_pk_fma_f32 v[62:63], v[38:39], s[0:1], v[52:53] op_sel_hi:[1,0,1]
	v_mov_b32_e32 v16, v17
	v_mov_b32_e32 v17, v38
	;; [unrolled: 1-line block ×12, first 2 shown]
	v_pk_fma_f32 v[38:39], v[38:39], 2.0, v[94:95] op_sel_hi:[1,0,1] neg_lo:[0,0,1] neg_hi:[0,0,1]
	v_pk_fma_f32 v[28:29], v[32:33], 2.0, v[20:21] op_sel_hi:[1,0,1] neg_lo:[0,0,1] neg_hi:[0,0,1]
	;; [unrolled: 1-line block ×4, first 2 shown]
	v_pk_add_f32 v[64:65], v[62:63], v[58:59] op_sel:[0,1] op_sel_hi:[1,0] neg_lo:[0,1] neg_hi:[0,1]
	v_pk_add_f32 v[58:59], v[62:63], v[58:59] op_sel:[0,1] op_sel_hi:[1,0]
	v_pk_mul_f32 v[62:63], v[38:39], s[0:1] op_sel_hi:[1,0]
	v_pk_fma_f32 v[32:33], v[38:39], s[0:1], v[28:29] op_sel_hi:[1,0,1] neg_lo:[1,0,0] neg_hi:[1,0,0]
	v_pk_mul_f32 v[50:51], v[26:27], s[0:1] op_sel_hi:[1,0]
	v_pk_fma_f32 v[10:11], v[26:27], s[0:1], v[8:9] op_sel_hi:[1,0,1] neg_lo:[1,0,0] neg_hi:[1,0,0]
	v_pk_add_f32 v[38:39], v[32:33], v[62:63] op_sel:[0,1] op_sel_hi:[1,0] neg_lo:[0,1] neg_hi:[0,1]
	v_pk_add_f32 v[32:33], v[32:33], v[62:63] op_sel:[0,1] op_sel_hi:[1,0]
	v_pk_add_f32 v[26:27], v[10:11], v[50:51] op_sel:[0,1] op_sel_hi:[1,0] neg_lo:[0,1] neg_hi:[0,1]
	v_pk_add_f32 v[10:11], v[10:11], v[50:51] op_sel:[0,1] op_sel_hi:[1,0]
	v_mov_b32_e32 v39, v33
	v_mov_b32_e32 v27, v11
	s_mov_b32 s4, 0x3f6c835e
	v_pk_fma_f32 v[50:51], v[26:27], s[2:3], v[38:39] op_sel_hi:[1,0,1]
	v_pk_mul_f32 v[54:55], v[26:27], s[4:5] op_sel_hi:[1,0]
	v_fma_f32 v10, v29, 2.0, -v33
	v_fma_f32 v8, v8, 2.0, -v26
	;; [unrolled: 1-line block ×3, first 2 shown]
	v_fmamk_f32 v9, v26, 0xbf6c835e, v10
	v_fmac_f32_e32 v9, 0x3ec3ef15, v8
	v_fma_f32 v11, v10, 2.0, -v9
	v_fma_f32 v10, v28, 2.0, -v38
	v_fmamk_f32 v8, v8, 0xbf6c835e, v10
	v_fmac_f32_e32 v8, 0xbec3ef15, v26
	v_mov_b32_e32 v26, v7
	v_mov_b32_e32 v27, v23
	;; [unrolled: 1-line block ×13, first 2 shown]
	v_pk_fma_f32 v[26:27], v[26:27], 2.0, v[28:29] op_sel_hi:[1,0,1] neg_lo:[0,0,1] neg_hi:[0,0,1]
	v_pk_fma_f32 v[6:7], v[6:7], 2.0, v[44:45] op_sel_hi:[1,0,1] neg_lo:[0,0,1] neg_hi:[0,0,1]
	;; [unrolled: 1-line block ×4, first 2 shown]
	v_pk_add_f32 v[6:7], v[26:27], v[6:7] neg_lo:[0,1] neg_hi:[0,1]
	v_pk_add_f32 v[0:1], v[22:23], v[0:1] neg_lo:[0,1] neg_hi:[0,1]
	v_pk_fma_f32 v[40:41], v[94:95], s[0:1], v[20:21] op_sel_hi:[1,0,1]
	v_pk_add_f32 v[30:31], v[6:7], v[0:1] neg_lo:[0,1] neg_hi:[0,1]
	v_pk_add_f32 v[32:33], v[6:7], v[0:1]
	v_pk_add_f32 v[62:63], v[50:51], v[54:55] op_sel:[0,1] op_sel_hi:[1,0] neg_lo:[0,1] neg_hi:[0,1]
	v_mov_b32_e32 v31, v33
	v_pk_mul_f32 v[32:33], v[94:95], s[0:1] op_sel_hi:[1,0]
	v_pk_add_f32 v[50:51], v[50:51], v[54:55] op_sel:[0,1] op_sel_hi:[1,0]
	v_pk_add_f32 v[44:45], v[40:41], v[32:33] op_sel:[0,1] op_sel_hi:[1,0] neg_lo:[0,1] neg_hi:[0,1]
	v_pk_add_f32 v[32:33], v[40:41], v[32:33] op_sel:[0,1] op_sel_hi:[1,0]
	v_pk_mul_f32 v[40:41], v[18:19], s[0:1] op_sel_hi:[1,0]
	v_pk_fma_f32 v[18:19], v[18:19], s[0:1], v[34:35] op_sel_hi:[1,0,1]
	v_mov_b32_e32 v63, v51
	v_pk_add_f32 v[50:51], v[18:19], v[40:41] op_sel:[0,1] op_sel_hi:[1,0] neg_lo:[0,1] neg_hi:[0,1]
	v_pk_add_f32 v[18:19], v[18:19], v[40:41] op_sel:[0,1] op_sel_hi:[1,0]
	v_mov_b32_e32 v45, v33
	v_mov_b32_e32 v51, v19
	v_fmamk_f32 v40, v50, 0x3f6c835e, v44
	v_fmamk_f32 v41, v19, 0x3f6c835e, v33
	v_fmac_f32_e32 v40, 0xbec3ef15, v19
	v_pk_fma_f32 v[18:19], v[20:21], 2.0, v[44:45] op_sel_hi:[1,0,1] neg_lo:[0,0,1] neg_hi:[0,0,1]
	v_pk_fma_f32 v[20:21], v[34:35], 2.0, v[50:51] op_sel_hi:[1,0,1] neg_lo:[0,0,1] neg_hi:[0,0,1]
	v_mov_b32_e32 v48, v49
	v_pk_fma_f32 v[34:35], v[20:21], s[2:3], v[18:19] op_sel_hi:[1,0,1] neg_lo:[1,0,0] neg_hi:[1,0,0]
	v_pk_mul_f32 v[20:21], v[20:21], s[4:5] op_sel_hi:[1,0]
	v_mov_b32_e32 v49, v52
	v_fma_f32 v32, v44, 2.0, -v40
	v_pk_add_f32 v[44:45], v[34:35], v[20:21] op_sel:[0,1] op_sel_hi:[1,0] neg_lo:[0,1] neg_hi:[0,1]
	v_pk_add_f32 v[20:21], v[34:35], v[20:21] op_sel:[0,1] op_sel_hi:[1,0]
	v_mov_b32_e32 v14, v15
	v_mov_b32_e32 v15, v12
	;; [unrolled: 1-line block ×3, first 2 shown]
	v_pk_fma_f32 v[20:21], v[28:29], 2.0, v[48:49] op_sel_hi:[1,0,1] neg_lo:[0,0,1] neg_hi:[0,0,1]
	v_pk_fma_f32 v[12:13], v[14:15], 2.0, v[16:17] op_sel_hi:[1,0,1] neg_lo:[0,0,1] neg_hi:[0,0,1]
	;; [unrolled: 1-line block ×3, first 2 shown]
	v_pk_mul_f32 v[14:15], v[12:13], s[0:1] op_sel_hi:[1,0]
	v_pk_fma_f32 v[12:13], v[12:13], s[0:1], v[20:21] op_sel_hi:[1,0,1] neg_lo:[1,0,0] neg_hi:[1,0,0]
	v_fma_f32 v10, v10, 2.0, -v8
	v_pk_add_f32 v[16:17], v[12:13], v[14:15] op_sel:[0,1] op_sel_hi:[1,0] neg_lo:[0,1] neg_hi:[0,1]
	v_pk_add_f32 v[12:13], v[12:13], v[14:15] op_sel:[0,1] op_sel_hi:[1,0]
	v_lshl_add_u64 v[36:37], v[66:67], 3, v[4:5]
	v_mov_b32_e32 v17, v13
	v_pk_fma_f32 v[12:13], v[26:27], 2.0, v[6:7] op_sel_hi:[1,0,1] neg_lo:[0,0,1] neg_hi:[0,0,1]
	v_lshl_add_u64 v[56:57], v[70:71], 3, v[4:5]
	v_pk_add_f32 v[0:1], v[12:13], v[0:1] op_sel:[0,1] op_sel_hi:[1,0] neg_lo:[0,1] neg_hi:[0,1]
	v_lshl_add_u64 v[60:61], v[72:73], 3, v[4:5]
	v_pk_fma_f32 v[12:13], v[12:13], 2.0, v[0:1] op_sel_hi:[1,0,1] neg_lo:[0,0,1] neg_hi:[0,0,1]
	global_store_dwordx2 v[24:25], v[12:13], off
	global_store_dwordx2 v[36:37], v[10:11], off
	v_pk_fma_f32 v[10:11], v[20:21], 2.0, v[16:17] op_sel_hi:[1,0,1] neg_lo:[0,0,1] neg_hi:[0,0,1]
	v_lshl_add_u64 v[66:67], v[74:75], 3, v[4:5]
	global_store_dwordx2 v[56:57], v[10:11], off
	v_pk_fma_f32 v[10:11], v[18:19], 2.0, v[44:45] op_sel_hi:[1,0,1] neg_lo:[0,0,1] neg_hi:[0,0,1]
	v_pk_fma_f32 v[6:7], v[6:7], 2.0, v[30:31] op_sel_hi:[1,0,1] neg_lo:[0,0,1] neg_hi:[0,0,1]
	v_lshl_add_u64 v[70:71], v[76:77], 3, v[4:5]
	v_mov_b32_e32 v59, v65
	global_store_dwordx2 v[60:61], v[10:11], off
	global_store_dwordx2 v[66:67], v[6:7], off
	v_pk_fma_f32 v[6:7], v[38:39], 2.0, v[62:63] op_sel_hi:[1,0,1] neg_lo:[0,0,1] neg_hi:[0,0,1]
	global_store_dwordx2 v[70:71], v[6:7], off
	v_pk_fma_f32 v[6:7], v[52:53], 2.0, v[58:59] op_sel_hi:[1,0,1] neg_lo:[0,0,1] neg_hi:[0,0,1]
	v_lshl_add_u64 v[72:73], v[78:79], 3, v[4:5]
	v_lshl_add_u64 v[2:3], v[2:3], 3, v[4:5]
	v_fmac_f32_e32 v41, 0x3ec3ef15, v50
	v_mov_b32_e32 v10, v7
	v_mov_b32_e32 v11, v6
	v_lshl_add_u64 v[74:75], v[80:81], 3, v[4:5]
	v_lshl_add_u64 v[76:77], v[82:83], 3, v[4:5]
	;; [unrolled: 1-line block ×7, first 2 shown]
	v_fma_f32 v33, v33, 2.0, -v41
	global_store_dwordx2 v[72:73], v[10:11], off
	global_store_dwordx2 v[74:75], v[32:33], off
	;; [unrolled: 1-line block ×8, first 2 shown]
	v_mov_b32_e32 v0, v65
	v_mov_b32_e32 v1, v58
	v_add_u32_e32 v3, 0x753, v68
	global_store_dwordx2 v[46:47], v[0:1], off
	v_mad_u64_u32 v[0:1], s[0:1], s8, v3, 0
	v_mov_b32_e32 v2, v1
	v_mad_u64_u32 v[2:3], s[0:1], s9, v3, v[2:3]
	v_mov_b32_e32 v1, v2
	v_lshl_add_u64 v[0:1], v[0:1], 3, v[4:5]
	global_store_dwordx2 v[0:1], v[40:41], off
.LBB0_39:
	s_endpgm
	.section	.rodata,"a",@progbits
	.p2align	6, 0x0
	.amdhsa_kernel fft_rtc_fwd_len2000_factors_5_5_5_16_wgs_125_tpt_125_halfLds_sp_ip_CI_sbrr_dirReg
		.amdhsa_group_segment_fixed_size 0
		.amdhsa_private_segment_fixed_size 0
		.amdhsa_kernarg_size 88
		.amdhsa_user_sgpr_count 2
		.amdhsa_user_sgpr_dispatch_ptr 0
		.amdhsa_user_sgpr_queue_ptr 0
		.amdhsa_user_sgpr_kernarg_segment_ptr 1
		.amdhsa_user_sgpr_dispatch_id 0
		.amdhsa_user_sgpr_kernarg_preload_length 0
		.amdhsa_user_sgpr_kernarg_preload_offset 0
		.amdhsa_user_sgpr_private_segment_size 0
		.amdhsa_uses_dynamic_stack 0
		.amdhsa_enable_private_segment 0
		.amdhsa_system_sgpr_workgroup_id_x 1
		.amdhsa_system_sgpr_workgroup_id_y 0
		.amdhsa_system_sgpr_workgroup_id_z 0
		.amdhsa_system_sgpr_workgroup_info 0
		.amdhsa_system_vgpr_workitem_id 0
		.amdhsa_next_free_vgpr 104
		.amdhsa_next_free_sgpr 24
		.amdhsa_accum_offset 104
		.amdhsa_reserve_vcc 1
		.amdhsa_float_round_mode_32 0
		.amdhsa_float_round_mode_16_64 0
		.amdhsa_float_denorm_mode_32 3
		.amdhsa_float_denorm_mode_16_64 3
		.amdhsa_dx10_clamp 1
		.amdhsa_ieee_mode 1
		.amdhsa_fp16_overflow 0
		.amdhsa_tg_split 0
		.amdhsa_exception_fp_ieee_invalid_op 0
		.amdhsa_exception_fp_denorm_src 0
		.amdhsa_exception_fp_ieee_div_zero 0
		.amdhsa_exception_fp_ieee_overflow 0
		.amdhsa_exception_fp_ieee_underflow 0
		.amdhsa_exception_fp_ieee_inexact 0
		.amdhsa_exception_int_div_zero 0
	.end_amdhsa_kernel
	.text
.Lfunc_end0:
	.size	fft_rtc_fwd_len2000_factors_5_5_5_16_wgs_125_tpt_125_halfLds_sp_ip_CI_sbrr_dirReg, .Lfunc_end0-fft_rtc_fwd_len2000_factors_5_5_5_16_wgs_125_tpt_125_halfLds_sp_ip_CI_sbrr_dirReg
                                        ; -- End function
	.section	.AMDGPU.csdata,"",@progbits
; Kernel info:
; codeLenInByte = 12328
; NumSgprs: 30
; NumVgprs: 104
; NumAgprs: 0
; TotalNumVgprs: 104
; ScratchSize: 0
; MemoryBound: 0
; FloatMode: 240
; IeeeMode: 1
; LDSByteSize: 0 bytes/workgroup (compile time only)
; SGPRBlocks: 3
; VGPRBlocks: 12
; NumSGPRsForWavesPerEU: 30
; NumVGPRsForWavesPerEU: 104
; AccumOffset: 104
; Occupancy: 4
; WaveLimiterHint : 1
; COMPUTE_PGM_RSRC2:SCRATCH_EN: 0
; COMPUTE_PGM_RSRC2:USER_SGPR: 2
; COMPUTE_PGM_RSRC2:TRAP_HANDLER: 0
; COMPUTE_PGM_RSRC2:TGID_X_EN: 1
; COMPUTE_PGM_RSRC2:TGID_Y_EN: 0
; COMPUTE_PGM_RSRC2:TGID_Z_EN: 0
; COMPUTE_PGM_RSRC2:TIDIG_COMP_CNT: 0
; COMPUTE_PGM_RSRC3_GFX90A:ACCUM_OFFSET: 25
; COMPUTE_PGM_RSRC3_GFX90A:TG_SPLIT: 0
	.text
	.p2alignl 6, 3212836864
	.fill 256, 4, 3212836864
	.type	__hip_cuid_51063ec42829e2fa,@object ; @__hip_cuid_51063ec42829e2fa
	.section	.bss,"aw",@nobits
	.globl	__hip_cuid_51063ec42829e2fa
__hip_cuid_51063ec42829e2fa:
	.byte	0                               ; 0x0
	.size	__hip_cuid_51063ec42829e2fa, 1

	.ident	"AMD clang version 19.0.0git (https://github.com/RadeonOpenCompute/llvm-project roc-6.4.0 25133 c7fe45cf4b819c5991fe208aaa96edf142730f1d)"
	.section	".note.GNU-stack","",@progbits
	.addrsig
	.addrsig_sym __hip_cuid_51063ec42829e2fa
	.amdgpu_metadata
---
amdhsa.kernels:
  - .agpr_count:     0
    .args:
      - .actual_access:  read_only
        .address_space:  global
        .offset:         0
        .size:           8
        .value_kind:     global_buffer
      - .offset:         8
        .size:           8
        .value_kind:     by_value
      - .actual_access:  read_only
        .address_space:  global
        .offset:         16
        .size:           8
        .value_kind:     global_buffer
      - .actual_access:  read_only
        .address_space:  global
        .offset:         24
        .size:           8
        .value_kind:     global_buffer
      - .offset:         32
        .size:           8
        .value_kind:     by_value
      - .actual_access:  read_only
        .address_space:  global
        .offset:         40
        .size:           8
        .value_kind:     global_buffer
      - .actual_access:  read_only
        .address_space:  global
        .offset:         48
        .size:           8
        .value_kind:     global_buffer
      - .offset:         56
        .size:           4
        .value_kind:     by_value
      - .actual_access:  read_only
        .address_space:  global
        .offset:         64
        .size:           8
        .value_kind:     global_buffer
      - .actual_access:  read_only
        .address_space:  global
        .offset:         72
        .size:           8
        .value_kind:     global_buffer
      - .address_space:  global
        .offset:         80
        .size:           8
        .value_kind:     global_buffer
    .group_segment_fixed_size: 0
    .kernarg_segment_align: 8
    .kernarg_segment_size: 88
    .language:       OpenCL C
    .language_version:
      - 2
      - 0
    .max_flat_workgroup_size: 125
    .name:           fft_rtc_fwd_len2000_factors_5_5_5_16_wgs_125_tpt_125_halfLds_sp_ip_CI_sbrr_dirReg
    .private_segment_fixed_size: 0
    .sgpr_count:     30
    .sgpr_spill_count: 0
    .symbol:         fft_rtc_fwd_len2000_factors_5_5_5_16_wgs_125_tpt_125_halfLds_sp_ip_CI_sbrr_dirReg.kd
    .uniform_work_group_size: 1
    .uses_dynamic_stack: false
    .vgpr_count:     104
    .vgpr_spill_count: 0
    .wavefront_size: 64
amdhsa.target:   amdgcn-amd-amdhsa--gfx950
amdhsa.version:
  - 1
  - 2
...

	.end_amdgpu_metadata
